;; amdgpu-corpus repo=ROCm/rccl kind=compiled arch=gfx90a opt=O3
	.text
	.amdgcn_target "amdgcn-amd-amdhsa--gfx90a"
	.amdhsa_code_object_version 6
	.p2align	2                               ; -- Begin function _ZN12_GLOBAL__N_17runRingIm14FuncSumPostDivImE7ProtoLLLi0ELi1ELi0EEEviiP15ncclDevWorkColl
	.type	_ZN12_GLOBAL__N_17runRingIm14FuncSumPostDivImE7ProtoLLLi0ELi1ELi0EEEviiP15ncclDevWorkColl,@function
_ZN12_GLOBAL__N_17runRingIm14FuncSumPostDivImE7ProtoLLLi0ELi1ELi0EEEviiP15ncclDevWorkColl: ; @_ZN12_GLOBAL__N_17runRingIm14FuncSumPostDivImE7ProtoLLLi0ELi1ELi0EEEviiP15ncclDevWorkColl
; %bb.0:
	s_waitcnt vmcnt(0) expcnt(0) lgkmcnt(0)
	s_or_saveexec_b64 s[4:5], -1
	buffer_store_dword v63, off, s[0:3], s32 offset:104 ; 4-byte Folded Spill
	s_mov_b64 exec, s[4:5]
	buffer_store_dword v40, off, s[0:3], s32 offset:100 ; 4-byte Folded Spill
	buffer_store_dword v41, off, s[0:3], s32 offset:96 ; 4-byte Folded Spill
	;; [unrolled: 1-line block ×25, first 2 shown]
	buffer_store_dword a43, off, s[0:3], s32 ; 4-byte Folded Spill
	v_writelane_b32 v63, s34, 0
	v_writelane_b32 v63, s35, 1
	;; [unrolled: 1-line block ×24, first 2 shown]
	s_trap 2
	flat_load_dword v5, v[2:3]
	flat_load_dwordx4 v[24:27], v[2:3] offset:72
	flat_load_dwordx2 v[8:9], v[2:3] offset:88
	v_mov_b32_e32 v22, v0
	ds_read_b32 v0, v0
	v_mov_b32_e32 v20, v1
                                        ; implicit-def: $vgpr10_vgpr11
                                        ; implicit-def: $agpr4_agpr5
	s_waitcnt lgkmcnt(0)
	ds_read_b64 v[36:37], v0
	v_readfirstlane_b32 s22, v0
	s_waitcnt vmcnt(0)
	v_not_b32_sdwa v1, v5 dst_sel:DWORD dst_unused:UNUSED_PAD src0_sel:BYTE_0
	v_add_u32_sdwa v4, v5, v1 dst_sel:DWORD dst_unused:UNUSED_PAD src0_sel:BYTE_1 src1_sel:DWORD
	v_ashrrev_i32_e32 v6, 31, v4
	v_mul_lo_u32 v7, v27, v4
	v_mad_u64_u32 v[18:19], s[4:5], v26, v4, 0
	v_mul_lo_u32 v4, v26, v6
	v_add3_u32 v4, v19, v4, v7
	v_cmp_ne_u32_sdwa s[4:5], v5, v0 src0_sel:BYTE_0 src1_sel:DWORD
	s_and_saveexec_b64 s[6:7], s[4:5]
	s_xor_b64 s[4:5], exec, s[6:7]
	s_cbranch_execz .LBB0_6
; %bb.1:
	v_cmp_ne_u32_sdwa s[6:7], v5, v0 src0_sel:BYTE_1 src1_sel:DWORD
                                        ; implicit-def: $vgpr10_vgpr11
                                        ; implicit-def: $agpr4_agpr5
	s_and_saveexec_b64 s[10:11], s[6:7]
	s_xor_b64 s[6:7], exec, s[10:11]
	s_cbranch_execz .LBB0_3
; %bb.2:
	flat_load_dwordx2 v[6:7], v[2:3] offset:96
	v_add_u32_e32 v0, v0, v1
	v_ashrrev_i32_e32 v1, 31, v0
	v_mul_lo_u32 v1, v26, v1
	v_mul_lo_u32 v5, v27, v0
	v_mad_u64_u32 v[10:11], s[10:11], v26, v0, v[24:25]
	v_add3_u32 v11, v5, v11, v1
	v_accvgpr_write_b32 a4, v10
	v_accvgpr_write_b32 a5, v11
	s_waitcnt vmcnt(0) lgkmcnt(0)
	v_lshrrev_b64 v[10:11], 20, v[6:7]
.LBB0_3:
	s_andn2_saveexec_b64 s[6:7], s[6:7]
	s_cbranch_execz .LBB0_5
; %bb.4:
	flat_load_dword v0, v[2:3] offset:100
	v_add_co_u32_e32 v6, vcc, v18, v24
	v_addc_co_u32_e32 v7, vcc, v4, v25, vcc
	v_accvgpr_write_b32 a4, v6
	v_accvgpr_write_b32 a5, v7
	v_pk_mov_b32 v[26:27], v[8:9], v[8:9] op_sel:[0,1]
	s_waitcnt vmcnt(0) lgkmcnt(0)
	v_lshrrev_b32_e32 v10, 9, v0
.LBB0_5:
	s_or_b64 exec, exec, s[6:7]
.LBB0_6:
	s_andn2_saveexec_b64 s[4:5], s[4:5]
	s_cbranch_execz .LBB0_8
; %bb.7:
	flat_load_dwordx2 v[0:1], v[2:3] offset:96
	v_pk_mov_b32 v[6:7], 0, 0
	v_accvgpr_write_b32 a4, v6
	v_accvgpr_write_b32 a5, v7
	v_pk_mov_b32 v[26:27], v[24:25], v[24:25] op_sel:[0,1]
	s_waitcnt vmcnt(0) lgkmcnt(0)
	v_lshlrev_b64 v[10:11], 1, v[0:1]
.LBB0_8:
	s_or_b64 exec, exec, s[4:5]
	flat_load_dword v0, v[2:3] offset:104
	flat_load_dwordx4 a[6:9], v[2:3] offset:16
	flat_load_ushort v13, v[2:3] offset:8
	flat_load_dword v12, v[2:3] offset:4
	v_mov_b32_e32 v61, 0
	s_mov_b32 s6, 0
	v_pk_mov_b32 v[28:29], -1, -1
	s_waitcnt vmcnt(0) lgkmcnt(0)
	v_alignbit_b32 v5, v0, v0, 1
	v_and_b32_e32 v60, 0x7fffffff, v5
	v_cmp_ne_u32_e32 vcc, 0, v60
	s_and_saveexec_b64 s[4:5], vcc
	s_cbranch_execz .LBB0_10
; %bb.9:
	v_cmp_eq_u32_e32 vcc, 1, v60
	v_cndmask_b32_e64 v0, 0, 1, vcc
	v_lshlrev_b32_e32 v2, 31, v0
	v_cndmask_b32_e64 v0, 3, 1, vcc
	v_mov_b32_e32 v1, v61
	v_cmp_ge_u64_e32 vcc, v[0:1], v[60:61]
	v_cndmask_b32_e64 v3, 0, 1, vcc
	v_cmp_lt_u64_e32 vcc, v[0:1], v[60:61]
	v_cndmask_b32_e64 v1, v60, 0, vcc
	v_sub_co_u32_e32 v0, vcc, v0, v1
	v_subb_co_u32_e64 v1, s[10:11], 0, 0, vcc
	v_lshlrev_b64 v[0:1], 1, v[0:1]
	v_or_b32_e32 v0, 1, v0
	v_lshlrev_b32_e32 v3, 30, v3
	v_cmp_ge_u64_e32 vcc, v[0:1], v[60:61]
	v_or_b32_e32 v2, v3, v2
	v_cndmask_b32_e64 v3, 0, 1, vcc
	v_cmp_lt_u64_e32 vcc, v[0:1], v[60:61]
	v_cndmask_b32_e64 v6, v60, 0, vcc
	v_sub_co_u32_e32 v0, vcc, v0, v6
	v_subbrev_co_u32_e32 v1, vcc, 0, v1, vcc
	v_lshlrev_b64 v[0:1], 1, v[0:1]
	v_or_b32_e32 v0, 1, v0
	v_cmp_ge_u64_e32 vcc, v[0:1], v[60:61]
	v_cndmask_b32_e64 v6, 0, 1, vcc
	v_lshlrev_b32_e32 v3, 29, v3
	v_lshlrev_b32_e32 v6, 28, v6
	v_cmp_lt_u64_e32 vcc, v[0:1], v[60:61]
	v_or3_b32 v2, v2, v3, v6
	v_cndmask_b32_e64 v3, v60, 0, vcc
	v_sub_co_u32_e32 v0, vcc, v0, v3
	v_subbrev_co_u32_e32 v1, vcc, 0, v1, vcc
	v_lshlrev_b64 v[0:1], 1, v[0:1]
	v_or_b32_e32 v0, 1, v0
	v_cmp_ge_u64_e32 vcc, v[0:1], v[60:61]
	v_cndmask_b32_e64 v3, 0, 1, vcc
	v_cmp_lt_u64_e32 vcc, v[0:1], v[60:61]
	v_cndmask_b32_e64 v6, v60, 0, vcc
	v_sub_co_u32_e32 v0, vcc, v0, v6
	v_subbrev_co_u32_e32 v1, vcc, 0, v1, vcc
	v_lshlrev_b64 v[0:1], 1, v[0:1]
	v_or_b32_e32 v0, 1, v0
	v_cmp_ge_u64_e32 vcc, v[0:1], v[60:61]
	v_cndmask_b32_e64 v6, 0, 1, vcc
	v_lshlrev_b32_e32 v3, 27, v3
	v_lshlrev_b32_e32 v6, 26, v6
	v_cmp_lt_u64_e32 vcc, v[0:1], v[60:61]
	v_or3_b32 v2, v2, v3, v6
	v_cndmask_b32_e64 v3, v60, 0, vcc
	v_sub_co_u32_e32 v0, vcc, v0, v3
	v_subbrev_co_u32_e32 v1, vcc, 0, v1, vcc
	v_lshlrev_b64 v[0:1], 1, v[0:1]
	v_or_b32_e32 v0, 1, v0
	v_cmp_ge_u64_e32 vcc, v[0:1], v[60:61]
	;; [unrolled: 19-line block ×14, first 2 shown]
	v_cndmask_b32_e64 v3, 0, 1, vcc
	v_cmp_lt_u64_e32 vcc, v[0:1], v[60:61]
	v_cndmask_b32_e64 v6, v60, 0, vcc
	v_sub_co_u32_e32 v0, vcc, v0, v6
	v_subbrev_co_u32_e32 v1, vcc, 0, v1, vcc
	v_lshlrev_b64 v[0:1], 1, v[0:1]
	v_or_b32_e32 v0, 1, v0
	v_cmp_ge_u64_e32 vcc, v[0:1], v[60:61]
	v_lshlrev_b32_e32 v3, 1, v3
	v_cndmask_b32_e64 v6, 0, 1, vcc
	v_cmp_lt_u64_e32 vcc, v[0:1], v[60:61]
	v_or3_b32 v29, v2, v3, v6
	v_cndmask_b32_e64 v2, v60, 0, vcc
	v_sub_co_u32_e32 v0, vcc, v0, v2
	v_subbrev_co_u32_e32 v1, vcc, 0, v1, vcc
	v_lshlrev_b64 v[0:1], 1, v[0:1]
	v_or_b32_e32 v0, 1, v0
	v_cmp_ge_u64_e32 vcc, v[0:1], v[60:61]
	v_cndmask_b32_e64 v2, 0, 1, vcc
	v_cmp_lt_u64_e32 vcc, v[0:1], v[60:61]
	v_cndmask_b32_e64 v3, v60, 0, vcc
	v_sub_co_u32_e32 v0, vcc, v0, v3
	v_subbrev_co_u32_e32 v1, vcc, 0, v1, vcc
	v_lshlrev_b64 v[0:1], 1, v[0:1]
	v_or_b32_e32 v0, 1, v0
	v_cmp_ge_u64_e32 vcc, v[0:1], v[60:61]
	v_cndmask_b32_e64 v3, 0, 1, vcc
	v_cmp_lt_u64_e32 vcc, v[0:1], v[60:61]
	v_cndmask_b32_e64 v6, v60, 0, vcc
	v_sub_co_u32_e32 v0, vcc, v0, v6
	v_subbrev_co_u32_e32 v1, vcc, 0, v1, vcc
	v_lshlrev_b64 v[0:1], 1, v[0:1]
	v_or_b32_e32 v0, 1, v0
	v_cmp_ge_u64_e32 vcc, v[0:1], v[60:61]
	v_cndmask_b32_e64 v6, 0, 1, vcc
	v_lshlrev_b32_e32 v2, 31, v2
	v_lshlrev_b32_e32 v3, 30, v3
	;; [unrolled: 1-line block ×3, first 2 shown]
	v_cmp_lt_u64_e32 vcc, v[0:1], v[60:61]
	v_or3_b32 v2, v2, v3, v6
	v_cndmask_b32_e64 v3, v60, 0, vcc
	v_sub_co_u32_e32 v0, vcc, v0, v3
	v_subbrev_co_u32_e32 v1, vcc, 0, v1, vcc
	v_lshlrev_b64 v[0:1], 1, v[0:1]
	v_or_b32_e32 v0, 1, v0
	v_cmp_ge_u64_e32 vcc, v[0:1], v[60:61]
	v_cndmask_b32_e64 v3, 0, 1, vcc
	v_cmp_lt_u64_e32 vcc, v[0:1], v[60:61]
	v_cndmask_b32_e64 v6, v60, 0, vcc
	v_sub_co_u32_e32 v0, vcc, v0, v6
	v_subbrev_co_u32_e32 v1, vcc, 0, v1, vcc
	v_lshlrev_b64 v[0:1], 1, v[0:1]
	v_or_b32_e32 v0, 1, v0
	v_cmp_ge_u64_e32 vcc, v[0:1], v[60:61]
	v_cndmask_b32_e64 v6, 0, 1, vcc
	v_lshlrev_b32_e32 v3, 28, v3
	v_lshlrev_b32_e32 v6, 27, v6
	v_cmp_lt_u64_e32 vcc, v[0:1], v[60:61]
	v_or3_b32 v2, v2, v3, v6
	v_cndmask_b32_e64 v3, v60, 0, vcc
	v_sub_co_u32_e32 v0, vcc, v0, v3
	v_subbrev_co_u32_e32 v1, vcc, 0, v1, vcc
	v_lshlrev_b64 v[0:1], 1, v[0:1]
	v_or_b32_e32 v0, 1, v0
	v_cmp_ge_u64_e32 vcc, v[0:1], v[60:61]
	v_cndmask_b32_e64 v3, 0, 1, vcc
	v_cmp_lt_u64_e32 vcc, v[0:1], v[60:61]
	v_cndmask_b32_e64 v6, v60, 0, vcc
	v_sub_co_u32_e32 v0, vcc, v0, v6
	v_subbrev_co_u32_e32 v1, vcc, 0, v1, vcc
	v_lshlrev_b64 v[0:1], 1, v[0:1]
	v_or_b32_e32 v0, 1, v0
	v_cmp_ge_u64_e32 vcc, v[0:1], v[60:61]
	v_cndmask_b32_e64 v6, 0, 1, vcc
	v_lshlrev_b32_e32 v3, 26, v3
	v_lshlrev_b32_e32 v6, 25, v6
	;; [unrolled: 19-line block ×14, first 2 shown]
	v_cmp_lt_u64_e32 vcc, v[0:1], v[60:61]
	v_or3_b32 v2, v2, v3, v6
	v_cndmask_b32_e64 v3, v60, 0, vcc
	v_sub_co_u32_e32 v0, vcc, v0, v3
	v_subbrev_co_u32_e32 v1, vcc, 0, v1, vcc
	v_lshlrev_b64 v[0:1], 1, v[0:1]
	v_or_b32_e32 v0, 1, v0
	v_cmp_ge_u64_e32 vcc, v[0:1], v[60:61]
	v_cndmask_b32_e64 v0, 0, 1, vcc
	v_or_b32_e32 v28, v2, v0
.LBB0_10:
	s_or_b64 exec, exec, s[4:5]
	s_load_dword s4, s[8:9], 0x0
	v_lshrrev_b64 v[2:3], 31, v[12:13]
	v_and_b32_e32 v6, 63, v22
	v_and_b32_e32 v7, 3, v2
	v_pk_mov_b32 v[32:33], 0, 0
	s_waitcnt lgkmcnt(0)
	s_cmp_lt_u32 s12, s4
	s_cselect_b32 s4, 12, 18
	s_add_u32 s4, s8, s4
	s_addc_u32 s5, s9, 0
	global_load_ushort v59, v61, s[4:5]
	s_trap 2
	ds_read_b32 v0, v0
	v_cmp_eq_u32_e64 s[4:5], 0, v6
	s_waitcnt lgkmcnt(0)
	v_cmp_gt_i32_e32 vcc, 0, v0
	s_cbranch_vccnz .LBB0_12
; %bb.11:
	s_trap 2
	ds_read_b64 v[2:3], v0
	v_mov_b32_e32 v1, 0
	v_lshlrev_b64 v[12:13], 3, v[0:1]
	v_and_b32_e32 v1, 0xffff, v7
	s_movk_i32 s6, 0xa8
	s_waitcnt lgkmcnt(0)
	v_add_co_u32_e32 v2, vcc, v2, v12
	v_addc_co_u32_e32 v3, vcc, v3, v13, vcc
	flat_load_dwordx2 v[2:3], v[2:3]
	s_waitcnt vmcnt(0) lgkmcnt(0)
	v_mad_u64_u32 v[2:3], s[6:7], v1, s6, v[2:3]
	flat_load_dwordx2 a[14:15], v[2:3] offset:504
	flat_load_dwordx2 v[38:39], v[2:3] offset:608
	v_add_co_u32_e32 v1, vcc, 0x1f8, v2
	v_addc_co_u32_e32 v2, vcc, 0, v3, vcc
	v_cndmask_b32_e64 v35, 0, v2, s[4:5]
	v_cndmask_b32_e64 v34, 0, v1, s[4:5]
	s_mov_b32 s6, 1
	s_branch .LBB0_13
.LBB0_12:
	v_pk_mov_b32 v[34:35], v[32:33], v[32:33] op_sel:[0,1]
                                        ; implicit-def: $vgpr38_vgpr39
                                        ; implicit-def: $agpr14_agpr15
.LBB0_13:
	s_trap 2
	ds_read_b32 v2, v0
	s_waitcnt lgkmcnt(0)
	v_cmp_gt_i32_e32 vcc, 0, v2
	s_cbranch_vccnz .LBB0_15
; %bb.14:
	s_trap 2
	ds_read_b64 v[12:13], v0
	v_mov_b32_e32 v3, 0
	v_lshlrev_b64 v[2:3], 3, v[2:3]
	v_and_b32_e32 v1, 0xffff, v7
	s_movk_i32 s4, 0xa8
	s_waitcnt lgkmcnt(0)
	v_add_co_u32_e32 v2, vcc, v12, v2
	v_addc_co_u32_e32 v3, vcc, v13, v3, vcc
	flat_load_dwordx2 v[2:3], v[2:3]
	v_cmp_eq_u32_e32 vcc, 0, v6
	s_waitcnt vmcnt(0) lgkmcnt(0)
	v_mad_u64_u32 v[2:3], s[4:5], v1, s4, v[2:3]
	flat_load_dwordx2 v[48:49], v[2:3]
	flat_load_dwordx2 v[16:17], v[2:3] offset:104
	v_cndmask_b32_e32 v33, 0, v3, vcc
	v_cndmask_b32_e32 v32, 0, v2, vcc
	s_branch .LBB0_16
.LBB0_15:
                                        ; implicit-def: $vgpr16_vgpr17
                                        ; implicit-def: $vgpr48_vgpr49
.LBB0_16:
	v_subrev_u32_e32 v1, 64, v20
	v_pk_mov_b32 v[12:13], 0, 0
	v_cmp_le_i32_e32 vcc, v1, v22
	v_cmp_gt_u32_e64 s[4:5], s6, v6
	v_accvgpr_write_b32 a17, v13
	s_and_b64 s[24:25], vcc, s[4:5]
	v_accvgpr_write_b32 a16, v12
                                        ; implicit-def: $vgpr50_vgpr51
	s_and_saveexec_b64 s[4:5], s[24:25]
	s_cbranch_execz .LBB0_18
; %bb.17:
	flat_load_dwordx2 a[16:17], v[34:35] offset:56
	flat_load_dwordx2 v[50:51], v[34:35] offset:104
.LBB0_18:
	s_or_b64 exec, exec, s[4:5]
	v_cmp_gt_i32_e64 s[4:5], s6, v22
	v_pk_mov_b32 v[54:55], v[12:13], v[12:13] op_sel:[0,1]
                                        ; implicit-def: $vgpr40_vgpr41
	s_and_saveexec_b64 s[6:7], s[4:5]
	s_cbranch_execz .LBB0_20
; %bb.19:
	flat_load_dwordx2 v[54:55], v[32:33] offset:56
	s_waitcnt vmcnt(0) lgkmcnt(0)
	flat_load_dwordx2 v[40:41], v[54:55] glc
	s_waitcnt vmcnt(0)
	flat_load_dwordx4 v[12:15], v[32:33] offset:96
.LBB0_20:
	s_or_b64 exec, exec, s[6:7]
	v_cmp_ne_u64_e32 vcc, 0, v[26:27]
	v_pk_mov_b32 v[42:43], 0, 0
	s_and_saveexec_b64 s[26:27], vcc
	s_cbranch_execz .LBB0_186
; %bb.21:
	v_ashrrev_i32_e32 v1, 31, v0
	v_lshrrev_b32_e32 v1, 29, v1
	v_add_u32_e32 v0, v0, v1
	v_ashrrev_i32_e32 v62, 7, v0
	v_add_co_u32_e32 v0, vcc, v8, v24
	v_addc_co_u32_e32 v1, vcc, v9, v25, vcc
	v_add_co_u32_e32 v56, vcc, v0, v18
	s_ashr_i32 s23, s22, 31
	v_addc_co_u32_e32 v57, vcc, v1, v4, vcc
	s_lshl_b64 s[6:7], s[22:23], 2
	v_mov_b32_e32 v0, s7
	v_add_co_u32_e32 v1, vcc, s6, v36
	v_addc_co_u32_e32 v0, vcc, v37, v0, vcc
	v_add_co_u32_e32 v2, vcc, -4, v1
	v_addc_co_u32_e32 v3, vcc, -1, v0, vcc
	v_and_b32_e32 v0, 63, v31
	v_ashrrev_i32_e32 v21, 31, v20
	v_cmp_eq_u32_e64 s[12:13], 0, v0
	v_lshrrev_b32_e32 v0, 26, v21
	v_add_u32_e32 v0, v20, v0
	v_ashrrev_i32_e32 v0, 6, v0
	v_accvgpr_write_b32 a21, v3
	v_ashrrev_i32_e32 v1, 31, v0
	v_accvgpr_write_b32 a20, v2
	v_accvgpr_write_b32 a22, v0
	;; [unrolled: 1-line block ×3, first 2 shown]
	v_ashrrev_i32_e32 v23, 31, v22
	v_accvgpr_read_b32 v0, a6
	v_lshlrev_b64 v[18:19], 3, v[22:23]
	v_accvgpr_read_b32 v2, a8
	v_accvgpr_read_b32 v3, a9
	v_add_co_u32_e32 v4, vcc, v2, v18
	v_accvgpr_write_b32 a26, v4
	v_addc_co_u32_e32 v4, vcc, v3, v19, vcc
	v_accvgpr_read_b32 v1, a7
	v_accvgpr_write_b32 a27, v4
	v_add_co_u32_e32 v4, vcc, v0, v18
	v_addc_co_u32_e32 v1, vcc, v1, v19, vcc
	v_accvgpr_write_b32 a29, v1
	v_and_b32_e32 v46, 7, v0
	v_accvgpr_read_b32 v0, a4
	v_mov_b32_e32 v47, 0
	v_accvgpr_read_b32 v1, a5
	v_cmp_eq_u64_e32 vcc, 0, v[46:47]
	v_lshlrev_b64 v[0:1], 3, v[0:1]
	v_cndmask_b32_e64 v53, 0, 1, vcc
	v_add_co_u32_e32 v0, vcc, v0, v18
	v_addc_co_u32_e32 v1, vcc, v1, v19, vcc
	v_add_co_u32_e32 v0, vcc, v2, v0
	v_addc_co_u32_e32 v1, vcc, v3, v1, vcc
	v_accvgpr_write_b32 a33, v1
	v_accvgpr_write_b32 a32, v0
	v_lshlrev_b32_e32 v0, 3, v10
	v_and_b32_e32 v0, 0x1fffff0, v0
	v_accvgpr_write_b32 a34, v0
	v_lshlrev_b64 v[0:1], 4, v[22:23]
	s_waitcnt vmcnt(0) lgkmcnt(0)
	v_add_co_u32_e32 v0, vcc, v48, v0
	v_accvgpr_write_b32 a10, v32
	v_accvgpr_write_b32 a31, v0
	v_addc_co_u32_e32 v0, vcc, v49, v1, vcc
	v_accvgpr_write_b32 a11, v33
	v_and_b32_e32 v32, 0x3ffffe, v10
	v_accvgpr_read_b32 v6, a16
	v_accvgpr_write_b32 a35, v0
	v_lshlrev_b64 v[0:1], 3, v[56:57]
	v_accvgpr_write_b32 a12, v34
	v_mov_b32_e32 v33, v47
	s_cmp_gt_i32 s22, 2
	v_accvgpr_read_b32 v7, a17
	v_accvgpr_write_b32 a25, v19
	v_accvgpr_write_b32 a37, v1
	v_pk_mov_b32 v[44:45], 0, 0
	v_accvgpr_write_b32 a18, v32
	v_accvgpr_write_b32 a13, v35
	s_mov_b64 s[28:29], 0
	v_cmp_ne_u64_e64 s[6:7], 0, v[54:55]
	v_cmp_ne_u64_e64 s[8:9], 0, v[12:13]
	v_cmp_ne_u32_e64 s[10:11], 64, v20
	v_cmp_ne_u32_sdwa s[30:31], v59, v20 src0_sel:WORD_0 src1_sel:DWORD
	s_cselect_b64 s[34:35], -1, 0
	v_cmp_ne_u64_e64 s[14:15], 0, v[6:7]
	v_accvgpr_write_b32 a28, v4
	v_cmp_gt_i32_e64 s[16:17], 0, v5
	v_mov_b32_e32 v8, v29
	v_accvgpr_write_b32 a24, v18
	s_movk_i32 s23, 0x2710
	s_mov_b64 s[36:37], 0x7ffffff8
	v_mov_b32_e32 v58, 0
	v_accvgpr_write_b32 a36, v0
	v_lshlrev_b64 v[34:35], 3, v[20:21]
	v_lshlrev_b64 v[10:11], 4, v[20:21]
	v_pk_mov_b32 v[42:43], v[44:45], v[44:45] op_sel:[0,1]
	v_mov_b32_e32 v30, v22
	v_accvgpr_write_b32 a19, v33
	s_branch .LBB0_23
.LBB0_22:                               ;   in Loop: Header=BB0_23 Depth=1
	s_or_b64 exec, exec, s[18:19]
	v_add_co_u32_e32 v38, vcc, 1, v38
	v_addc_co_u32_e32 v39, vcc, 0, v39, vcc
	v_add_co_u32_e32 v44, vcc, v44, v32
	v_accvgpr_read_b32 v27, a3
	v_addc_co_u32_e32 v45, vcc, 0, v45, vcc
	v_accvgpr_read_b32 v26, a2
	v_cmp_ge_u64_e32 vcc, v[44:45], v[26:27]
	v_accvgpr_read_b32 v0, a32
	s_waitcnt vmcnt(0) lgkmcnt(0)
	v_accvgpr_read_b32 v2, a34
	s_or_b64 s[28:29], vcc, s[28:29]
	v_accvgpr_read_b32 v1, a33
	v_add_co_u32_e32 v0, vcc, v0, v2
	v_addc_co_u32_e32 v1, vcc, 0, v1, vcc
	v_accvgpr_write_b32 a33, v1
	v_accvgpr_write_b32 a32, v0
	s_andn2_b64 exec, exec, s[28:29]
	s_cbranch_execz .LBB0_185
.LBB0_23:                               ; =>This Loop Header: Depth=1
                                        ;     Child Loop BB0_30 Depth 2
                                        ;     Child Loop BB0_47 Depth 2
	;; [unrolled: 1-line block ×5, first 2 shown]
                                        ;       Child Loop BB0_83 Depth 3
                                        ;       Child Loop BB0_99 Depth 3
	;; [unrolled: 1-line block ×3, first 2 shown]
                                        ;         Child Loop BB0_118 Depth 4
                                        ;       Child Loop BB0_132 Depth 3
                                        ;       Child Loop BB0_76 Depth 3
                                        ;     Child Loop BB0_147 Depth 2
                                        ;       Child Loop BB0_151 Depth 3
                                        ;     Child Loop BB0_173 Depth 2
	v_accvgpr_read_b32 v0, a20
	v_accvgpr_read_b32 v1, a21
	flat_load_dword v2, v[0:1]
	v_sub_co_u32_e32 v0, vcc, v26, v44
	v_subb_co_u32_e32 v1, vcc, v27, v45, vcc
	v_cmp_lt_u64_e32 vcc, v[32:33], v[0:1]
	v_accvgpr_write_b32 a2, v26
	v_cndmask_b32_e32 v0, v0, v32, vcc
	v_accvgpr_write_b32 a3, v27
	v_accvgpr_write_b32 a40, v0
	s_and_saveexec_b64 s[18:19], s[6:7]
	s_cbranch_execz .LBB0_39
; %bb.24:                               ;   in Loop: Header=BB0_23 Depth=1
	v_add_co_u32_e32 v0, vcc, 1, v14
	v_addc_co_u32_e32 v1, vcc, 0, v15, vcc
	v_add_co_u32_e32 v4, vcc, 8, v40
	v_addc_co_u32_e32 v5, vcc, 0, v41, vcc
	v_cmp_lt_u64_e32 vcc, v[4:5], v[0:1]
	s_and_saveexec_b64 s[20:21], vcc
	s_cbranch_execz .LBB0_36
; %bb.25:                               ;   in Loop: Header=BB0_23 Depth=1
	s_sleep 1
	flat_load_dwordx2 v[40:41], v[54:55] glc
	v_cmp_eq_u32_e32 vcc, 0, v58
	s_and_saveexec_b64 s[38:39], vcc
	s_cbranch_execz .LBB0_35
; %bb.26:                               ;   in Loop: Header=BB0_23 Depth=1
	v_cndmask_b32_e64 v3, 0, 1, vcc
	s_mov_b64 s[40:41], 0
                                        ; implicit-def: $sgpr42_sgpr43
	s_branch .LBB0_30
.LBB0_27:                               ;   in Loop: Header=BB0_30 Depth=2
	s_or_b64 exec, exec, s[50:51]
	s_orn2_b64 s[48:49], s[48:49], exec
.LBB0_28:                               ;   in Loop: Header=BB0_30 Depth=2
	s_or_b64 exec, exec, s[46:47]
	s_xor_b64 vcc, s[48:49], -1
	s_andn2_b64 s[42:43], s[42:43], exec
	s_and_b64 vcc, vcc, exec
	s_or_b64 s[42:43], s[42:43], vcc
.LBB0_29:                               ;   in Loop: Header=BB0_30 Depth=2
	s_or_b64 exec, exec, s[44:45]
	s_and_b64 vcc, exec, s[42:43]
	s_or_b64 s[40:41], vcc, s[40:41]
	s_andn2_b64 exec, exec, s[40:41]
	s_cbranch_execz .LBB0_34
.LBB0_30:                               ;   Parent Loop BB0_23 Depth=1
                                        ; =>  This Inner Loop Header: Depth=2
	s_waitcnt vmcnt(0) lgkmcnt(0)
	v_add_co_u32_e32 v4, vcc, 8, v40
	v_addc_co_u32_e32 v5, vcc, 0, v41, vcc
	v_cmp_lt_u64_e32 vcc, v[4:5], v[0:1]
	v_mov_b32_e32 v58, 0
	s_or_b64 s[42:43], s[42:43], exec
	s_and_saveexec_b64 s[44:45], vcc
	s_cbranch_execz .LBB0_29
; %bb.31:                               ;   in Loop: Header=BB0_30 Depth=2
	s_sleep 1
	flat_load_dwordx2 v[40:41], v[54:55] glc
	v_add_u32_e32 v3, 1, v3
	v_cmp_eq_u32_e32 vcc, s23, v3
	s_mov_b64 s[48:49], -1
	v_mov_b32_e32 v58, 0
	s_and_saveexec_b64 s[46:47], vcc
	s_cbranch_execz .LBB0_28
; %bb.32:                               ;   in Loop: Header=BB0_30 Depth=2
	s_trap 2
	ds_read_b64 v[4:5], v0
	v_mov_b32_e32 v3, 0
	v_mov_b32_e32 v58, 0
	s_waitcnt vmcnt(0) lgkmcnt(0)
	flat_load_dword v4, v[4:5] glc
	s_waitcnt vmcnt(0) lgkmcnt(0)
	buffer_invl2
	buffer_wbinvl1_vol
	v_cmp_ne_u32_e32 vcc, 0, v4
	s_and_saveexec_b64 s[50:51], vcc
	s_cbranch_execz .LBB0_27
; %bb.33:                               ;   in Loop: Header=BB0_30 Depth=2
	v_mov_b32_e32 v58, 1
	s_xor_b64 s[48:49], exec, -1
	ds_write_b32 v0, v4
	s_trap 2
	s_branch .LBB0_27
.LBB0_34:                               ;   in Loop: Header=BB0_23 Depth=1
	s_or_b64 exec, exec, s[40:41]
.LBB0_35:                               ;   in Loop: Header=BB0_23 Depth=1
	s_or_b64 exec, exec, s[38:39]
.LBB0_36:                               ;   in Loop: Header=BB0_23 Depth=1
	s_or_b64 exec, exec, s[20:21]
	s_and_saveexec_b64 s[20:21], s[8:9]
	s_cbranch_execz .LBB0_38
; %bb.37:                               ;   in Loop: Header=BB0_23 Depth=1
	v_and_b32_e32 v46, 0x7ffffff8, v14
	v_cmp_eq_u64_e32 vcc, s[36:37], v[46:47]
	v_accvgpr_read_b32 v3, a40
	v_cndmask_b32_e32 v3, v3, v62, vcc
	v_lshlrev_b32_e32 v4, 4, v3
	v_and_b32_e32 v3, 7, v14
	v_ashrrev_i32_e32 v5, 31, v4
	v_mad_u64_u32 v[6:7], vcc, v3, 24, v[12:13]
	flat_store_dwordx2 v[6:7], v[4:5] offset:8
	s_waitcnt vmcnt(0)
.LBB0_38:                               ;   in Loop: Header=BB0_23 Depth=1
	s_or_b64 exec, exec, s[20:21]
	v_pk_mov_b32 v[14:15], v[0:1], v[0:1] op_sel:[0,1]
.LBB0_39:                               ;   in Loop: Header=BB0_23 Depth=1
	s_or_b64 exec, exec, s[18:19]
	s_and_saveexec_b64 s[18:19], s[10:11]
	s_cbranch_execz .LBB0_58
; %bb.40:                               ;   in Loop: Header=BB0_23 Depth=1
	s_and_saveexec_b64 s[20:21], s[30:31]
	s_xor_b64 s[20:21], exec, s[20:21]
	s_cbranch_execz .LBB0_55
; %bb.41:                               ;   in Loop: Header=BB0_23 Depth=1
	s_and_saveexec_b64 s[38:39], s[12:13]
	s_cbranch_execz .LBB0_54
; %bb.42:                               ;   in Loop: Header=BB0_23 Depth=1
	s_mov_b64 s[42:43], exec
	v_mbcnt_lo_u32_b32 v0, s42, 0
	v_mbcnt_hi_u32_b32 v0, s43, v0
	v_cmp_eq_u32_e32 vcc, 0, v0
	s_waitcnt vmcnt(0) lgkmcnt(0)
	buffer_wbinvl1_vol
	s_and_saveexec_b64 s[40:41], vcc
	s_cbranch_execz .LBB0_44
; %bb.43:                               ;   in Loop: Header=BB0_23 Depth=1
	s_bcnt1_i32_b64 vcc_lo, s[42:43]
	v_mov_b32_e32 v46, vcc_lo
	ds_add_u64 v0, v[46:47]
	s_trap 2
.LBB0_44:                               ;   in Loop: Header=BB0_23 Depth=1
	s_or_b64 exec, exec, s[40:41]
	s_trap 2
	ds_read_b64 v[0:1], v0
	v_accvgpr_read_b32 v4, a22
	v_add_co_u32_e32 v42, vcc, v42, v4
	v_accvgpr_read_b32 v3, a23
	v_addc_co_u32_e32 v43, vcc, v43, v3, vcc
	s_waitcnt lgkmcnt(0)
	v_cmp_lt_u64_e32 vcc, v[0:1], v[42:43]
	s_and_saveexec_b64 s[40:41], vcc
	s_cbranch_execz .LBB0_53
; %bb.45:                               ;   in Loop: Header=BB0_23 Depth=1
	s_mov_b32 s52, 0
	s_mov_b64 s[42:43], 0
                                        ; implicit-def: $sgpr44_sgpr45
                                        ; implicit-def: $sgpr46_sgpr47
	s_branch .LBB0_47
.LBB0_46:                               ;   in Loop: Header=BB0_47 Depth=2
	s_or_b64 exec, exec, s[50:51]
	s_and_b64 vcc, exec, vcc
	s_or_b64 s[42:43], vcc, s[42:43]
	s_andn2_b64 vcc, s[44:45], exec
	s_and_b64 s[44:45], s[46:47], exec
	s_or_b64 s[44:45], vcc, s[44:45]
	s_andn2_b64 exec, exec, s[42:43]
	s_cbranch_execz .LBB0_51
.LBB0_47:                               ;   Parent Loop BB0_23 Depth=1
                                        ; =>  This Inner Loop Header: Depth=2
	s_add_i32 s52, s52, 1
	s_cmpk_lg_i32 s52, 0x2710
	s_cselect_b64 s[48:49], -1, 0
	s_and_b64 vcc, exec, s[48:49]
                                        ; implicit-def: $sgpr50_sgpr51
	s_cbranch_vccnz .LBB0_49
; %bb.48:                               ;   in Loop: Header=BB0_47 Depth=2
	s_trap 2
	ds_read_b64 v[0:1], v0
	s_andn2_b64 s[48:49], s[48:49], exec
	s_mov_b32 s52, 0
	s_mov_b64 s[50:51], -1
	s_waitcnt lgkmcnt(0)
	flat_load_dword v0, v[0:1] glc
	s_waitcnt vmcnt(0) lgkmcnt(0)
	buffer_invl2
	buffer_wbinvl1_vol
	v_cmp_eq_u32_e32 vcc, 0, v0
	s_and_b64 vcc, vcc, exec
	s_or_b64 s[48:49], s[48:49], vcc
.LBB0_49:                               ;   in Loop: Header=BB0_47 Depth=2
	s_andn2_b64 s[46:47], s[46:47], exec
	s_and_b64 s[50:51], s[50:51], exec
	s_mov_b64 vcc, -1
	s_or_b64 s[46:47], s[46:47], s[50:51]
	s_and_saveexec_b64 s[50:51], s[48:49]
	s_cbranch_execz .LBB0_46
; %bb.50:                               ;   in Loop: Header=BB0_47 Depth=2
	s_sleep 1
	s_trap 2
	ds_read_b64 v[0:1], v0
	s_andn2_b64 s[46:47], s[46:47], exec
	s_waitcnt lgkmcnt(0)
	v_cmp_ge_u64_e32 vcc, v[0:1], v[42:43]
	s_orn2_b64 vcc, vcc, exec
	s_branch .LBB0_46
.LBB0_51:                               ;   in Loop: Header=BB0_23 Depth=1
	s_or_b64 exec, exec, s[42:43]
	s_and_saveexec_b64 vcc, s[44:45]
	s_xor_b64 vcc, exec, vcc
	s_cbranch_execz .LBB0_53
; %bb.52:                               ;   in Loop: Header=BB0_23 Depth=1
	v_mov_b32_e32 v0, 1
	ds_write_b32 v0, v0
	s_trap 2
.LBB0_53:                               ;   in Loop: Header=BB0_23 Depth=1
	s_or_b64 exec, exec, s[40:41]
	;;#ASMSTART
	s_wakeup
	;;#ASMEND
.LBB0_54:                               ;   in Loop: Header=BB0_23 Depth=1
	s_or_b64 exec, exec, s[38:39]
.LBB0_55:                               ;   in Loop: Header=BB0_23 Depth=1
	s_andn2_saveexec_b64 s[20:21], s[20:21]
	s_cbranch_execz .LBB0_57
; %bb.56:                               ;   in Loop: Header=BB0_23 Depth=1
	s_waitcnt vmcnt(0) lgkmcnt(0)
	buffer_wbinvl1_vol
	s_barrier
.LBB0_57:                               ;   in Loop: Header=BB0_23 Depth=1
	s_or_b64 exec, exec, s[20:21]
.LBB0_58:                               ;   in Loop: Header=BB0_23 Depth=1
	s_or_b64 exec, exec, s[18:19]
	v_accvgpr_read_b32 v0, a40
	v_sub_u32_e32 v6, v0, v22
	v_cmp_lt_i32_e64 s[18:19], 0, v6
	v_and_b32_e32 v1, 7, v16
	v_mov_b32_e32 v0, v22
	s_and_saveexec_b64 s[20:21], s[18:19]
	s_cbranch_execz .LBB0_62
; %bb.59:                               ;   in Loop: Header=BB0_23 Depth=1
	v_accvgpr_read_b32 v18, a32
	v_accvgpr_read_b32 v24, a36
	s_waitcnt vmcnt(0) lgkmcnt(0)
	v_ashrrev_i32_e32 v0, 31, v2
	v_mul_lo_u32 v4, v1, v62
	v_mov_b32_e32 v3, v16
	v_add_co_u32_e64 v7, vcc, 0, 0
	v_accvgpr_read_b32 v19, a33
	v_accvgpr_read_b32 v25, a37
	v_ashrrev_i32_e32 v5, 31, v4
	v_addc_co_u32_e32 v3, vcc, 1, v3, vcc
	v_mad_u64_u32 v[18:19], vcc, v24, v2, v[18:19]
	v_mul_lo_u32 v2, v25, v2
	v_mul_lo_u32 v0, v24, v0
	v_add3_u32 v19, v2, v19, v0
	v_lshlrev_b64 v[4:5], 4, v[4:5]
	v_accvgpr_read_b32 v2, a31
	v_add_co_u32_e32 v24, vcc, v2, v4
	v_accvgpr_read_b32 v2, a35
	v_mov_b32_e32 v0, v22
	v_addc_co_u32_e32 v25, vcc, v2, v5, vcc
	s_mov_b64 s[38:39], 0
	v_mov_b32_e32 v9, v6
.LBB0_60:                               ;   Parent Loop BB0_23 Depth=1
                                        ; =>  This Inner Loop Header: Depth=2
	global_load_dwordx2 v[22:23], v[18:19], off glc slc
	v_add_co_u32_e32 v18, vcc, v18, v34
	v_sub_u32_e32 v9, v9, v20
	v_addc_co_u32_e32 v19, vcc, v19, v35, vcc
	v_mov_b32_e32 v5, v3
	v_cmp_gt_i32_e32 vcc, 1, v9
	s_or_b64 s[38:39], vcc, s[38:39]
	v_add_u32_e32 v0, v0, v20
	s_waitcnt vmcnt(0)
	v_mov_b32_e32 v4, v23
	v_or_b32_e32 v2, v22, v7
	v_or_b32_e32 v4, v4, v7
	global_store_dwordx4 v[24:25], v[2:5], off
	v_add_co_u32_e32 v24, vcc, v24, v10
	v_addc_co_u32_e32 v25, vcc, v25, v11, vcc
	s_andn2_b64 exec, exec, s[38:39]
	s_cbranch_execnz .LBB0_60
; %bb.61:                               ;   in Loop: Header=BB0_23 Depth=1
	s_or_b64 exec, exec, s[38:39]
	v_mov_b32_e32 v22, v30
.LBB0_62:                               ;   in Loop: Header=BB0_23 Depth=1
	s_or_b64 exec, exec, s[20:21]
	v_and_b32_e32 v46, 0x7ffffff8, v16
	v_cmp_eq_u64_e32 vcc, s[36:37], v[46:47]
	v_cmp_gt_i32_e64 s[20:21], v62, v0
	s_and_b64 s[20:21], vcc, s[20:21]
	s_and_saveexec_b64 s[38:39], s[20:21]
	s_cbranch_execz .LBB0_65
; %bb.63:                               ;   in Loop: Header=BB0_23 Depth=1
	v_mul_lo_u32 v4, v1, v62
	v_mov_b32_e32 v1, v16
	s_waitcnt vmcnt(0) lgkmcnt(0)
	v_add_co_u32_e64 v2, vcc, 0, 0
	v_ashrrev_i32_e32 v5, 31, v4
	v_addc_co_u32_e32 v3, vcc, 1, v1, vcc
	v_ashrrev_i32_e32 v1, 31, v0
	v_lshlrev_b64 v[18:19], 4, v[0:1]
	v_lshlrev_b64 v[4:5], 4, v[4:5]
	v_add_co_u32_e32 v1, vcc, v18, v4
	v_addc_co_u32_e32 v4, vcc, v19, v5, vcc
	v_add_co_u32_e32 v18, vcc, v48, v1
	v_addc_co_u32_e32 v19, vcc, v49, v4, vcc
	s_mov_b64 s[40:41], 0
.LBB0_64:                               ;   Parent Loop BB0_23 Depth=1
                                        ; =>  This Inner Loop Header: Depth=2
	v_mov_b32_e32 v4, v2
	v_mov_b32_e32 v5, v3
	v_add_u32_e32 v0, v0, v20
	global_store_dwordx4 v[18:19], v[2:5], off
	v_cmp_ge_i32_e32 vcc, v0, v62
	v_add_co_u32_e64 v18, s[20:21], v18, v10
	s_or_b64 s[40:41], vcc, s[40:41]
	v_addc_co_u32_e64 v19, vcc, v19, v11, s[20:21]
	s_andn2_b64 exec, exec, s[40:41]
	s_cbranch_execnz .LBB0_64
.LBB0_65:                               ;   in Loop: Header=BB0_23 Depth=1
	s_or_b64 exec, exec, s[38:39]
	v_accvgpr_read_b32 v0, a4
	v_accvgpr_read_b32 v1, a5
	v_add_co_u32_e32 v0, vcc, v44, v0
	v_accvgpr_write_b32 a6, v60
	v_addc_co_u32_e32 v1, vcc, v45, v1, vcc
	v_accvgpr_write_b32 a7, v61
	v_add_co_u32_e32 v60, vcc, 1, v16
	v_addc_co_u32_e32 v61, vcc, 0, v17, vcc
	v_accvgpr_write_b32 a38, v44
	s_andn2_b64 vcc, exec, s[34:35]
	v_lshlrev_b64 v[18:19], 3, v[0:1]
	v_accvgpr_write_b32 a39, v45
	s_cbranch_vccnz .LBB0_143
; %bb.66:                               ;   in Loop: Header=BB0_23 Depth=1
	v_accvgpr_read_b32 v0, a26
	v_add_co_u32_e32 v21, vcc, v0, v18
	v_accvgpr_read_b32 v0, a27
	v_addc_co_u32_e32 v9, vcc, v0, v19, vcc
	v_add_u16_e32 v52, 1, v16
	s_mov_b32 s54, 2
	s_branch .LBB0_68
.LBB0_67:                               ;   in Loop: Header=BB0_68 Depth=2
	s_or_b64 exec, exec, s[38:39]
	v_add_co_u32_e32 v38, vcc, 1, v38
	v_addc_co_u32_e32 v39, vcc, 0, v39, vcc
	s_add_i32 s54, s54, 1
	v_add_co_u32_e32 v60, vcc, 1, v60
	v_addc_co_u32_e32 v61, vcc, 0, v61, vcc
	s_cmp_eq_u32 s54, s22
	v_add_u16_e32 v52, 1, v52
	s_cbranch_scc1 .LBB0_144
.LBB0_68:                               ;   Parent Loop BB0_23 Depth=1
                                        ; =>  This Loop Header: Depth=2
                                        ;       Child Loop BB0_83 Depth 3
                                        ;       Child Loop BB0_99 Depth 3
	;; [unrolled: 1-line block ×3, first 2 shown]
                                        ;         Child Loop BB0_118 Depth 4
                                        ;       Child Loop BB0_132 Depth 3
                                        ;       Child Loop BB0_76 Depth 3
	s_sub_i32 s20, s22, s54
	s_ashr_i32 s21, s20, 31
	s_lshl_b64 s[20:21], s[20:21], 2
	v_mov_b32_e32 v1, s21
	v_add_co_u32_e32 v0, vcc, s20, v36
	v_addc_co_u32_e32 v1, vcc, v37, v1, vcc
	s_waitcnt vmcnt(0) lgkmcnt(0)
	flat_load_dword v2, v[0:1]
	s_and_saveexec_b64 s[20:21], s[6:7]
	s_cbranch_execnz .LBB0_77
; %bb.69:                               ;   in Loop: Header=BB0_68 Depth=2
	s_or_b64 exec, exec, s[20:21]
	s_and_saveexec_b64 s[20:21], s[10:11]
	s_cbranch_execnz .LBB0_92
.LBB0_70:                               ;   in Loop: Header=BB0_68 Depth=2
	s_or_b64 exec, exec, s[20:21]
	v_mov_b32_e32 v0, v22
	s_and_saveexec_b64 s[38:39], s[18:19]
	s_cbranch_execnz .LBB0_110
.LBB0_71:                               ;   in Loop: Header=BB0_68 Depth=2
	s_or_b64 exec, exec, s[38:39]
	s_and_saveexec_b64 s[20:21], s[10:11]
	s_cbranch_execnz .LBB0_125
.LBB0_72:                               ;   in Loop: Header=BB0_68 Depth=2
	s_or_b64 exec, exec, s[20:21]
	s_and_saveexec_b64 s[20:21], s[14:15]
	s_cbranch_execz .LBB0_74
.LBB0_73:                               ;   in Loop: Header=BB0_68 Depth=2
	v_add_co_u32_e32 v50, vcc, 1, v50
	s_waitcnt vmcnt(0) lgkmcnt(0)
	v_accvgpr_read_b32 v2, a16
	v_addc_co_u32_e32 v51, vcc, 0, v51, vcc
	v_accvgpr_read_b32 v3, a17
	flat_store_dwordx2 v[2:3], v[50:51]
.LBB0_74:                               ;   in Loop: Header=BB0_68 Depth=2
	s_or_b64 exec, exec, s[20:21]
	v_and_b32_e32 v46, 0x7ffffff8, v60
	v_cmp_eq_u64_e32 vcc, s[36:37], v[46:47]
	v_cmp_gt_i32_e64 s[20:21], v62, v0
	s_and_b64 s[20:21], vcc, s[20:21]
	s_and_saveexec_b64 s[38:39], s[20:21]
	s_cbranch_execz .LBB0_67
; %bb.75:                               ;   in Loop: Header=BB0_68 Depth=2
	v_and_b32_e32 v1, 7, v52
	s_waitcnt vmcnt(0) lgkmcnt(0)
	v_mul_lo_u32 v2, v62, v1
	v_ashrrev_i32_e32 v3, 31, v2
	v_lshlrev_b64 v[4:5], 4, v[2:3]
	v_mov_b32_e32 v1, v60
	v_add_co_u32_e64 v2, vcc, 0, 0
	v_addc_co_u32_e32 v3, vcc, 1, v1, vcc
	v_ashrrev_i32_e32 v1, 31, v0
	v_lshlrev_b64 v[16:17], 4, v[0:1]
	v_add_co_u32_e32 v1, vcc, v16, v4
	v_addc_co_u32_e32 v4, vcc, v17, v5, vcc
	v_add_co_u32_e32 v16, vcc, v48, v1
	v_addc_co_u32_e32 v17, vcc, v49, v4, vcc
	s_mov_b64 s[40:41], 0
.LBB0_76:                               ;   Parent Loop BB0_23 Depth=1
                                        ;     Parent Loop BB0_68 Depth=2
                                        ; =>    This Inner Loop Header: Depth=3
	v_mov_b32_e32 v4, v2
	v_mov_b32_e32 v5, v3
	v_add_u32_e32 v0, v0, v20
	global_store_dwordx4 v[16:17], v[2:5], off
	v_cmp_ge_i32_e32 vcc, v0, v62
	v_add_co_u32_e64 v16, s[20:21], v16, v10
	s_or_b64 s[40:41], vcc, s[40:41]
	v_addc_co_u32_e64 v17, vcc, v17, v11, s[20:21]
	s_andn2_b64 exec, exec, s[40:41]
	s_cbranch_execnz .LBB0_76
	s_branch .LBB0_67
.LBB0_77:                               ;   in Loop: Header=BB0_68 Depth=2
	v_add_co_u32_e32 v0, vcc, 1, v14
	v_addc_co_u32_e32 v1, vcc, 0, v15, vcc
	v_add_co_u32_e32 v4, vcc, 8, v40
	v_addc_co_u32_e32 v5, vcc, 0, v41, vcc
	v_cmp_lt_u64_e32 vcc, v[4:5], v[0:1]
	s_and_saveexec_b64 s[38:39], vcc
	s_cbranch_execz .LBB0_89
; %bb.78:                               ;   in Loop: Header=BB0_68 Depth=2
	s_sleep 1
	flat_load_dwordx2 v[40:41], v[54:55] glc
	v_cmp_eq_u32_e32 vcc, 0, v58
	s_and_saveexec_b64 s[40:41], vcc
	s_cbranch_execz .LBB0_88
; %bb.79:                               ;   in Loop: Header=BB0_68 Depth=2
	v_cndmask_b32_e64 v3, 0, 1, vcc
	s_mov_b64 s[42:43], 0
                                        ; implicit-def: $sgpr44_sgpr45
	s_branch .LBB0_83
.LBB0_80:                               ;   in Loop: Header=BB0_83 Depth=3
	s_or_b64 exec, exec, s[52:53]
	s_orn2_b64 s[50:51], s[50:51], exec
.LBB0_81:                               ;   in Loop: Header=BB0_83 Depth=3
	s_or_b64 exec, exec, s[48:49]
	s_xor_b64 vcc, s[50:51], -1
	s_andn2_b64 s[44:45], s[44:45], exec
	s_and_b64 vcc, vcc, exec
	s_or_b64 s[44:45], s[44:45], vcc
.LBB0_82:                               ;   in Loop: Header=BB0_83 Depth=3
	s_or_b64 exec, exec, s[46:47]
	s_and_b64 vcc, exec, s[44:45]
	s_or_b64 s[42:43], vcc, s[42:43]
	s_andn2_b64 exec, exec, s[42:43]
	s_cbranch_execz .LBB0_87
.LBB0_83:                               ;   Parent Loop BB0_23 Depth=1
                                        ;     Parent Loop BB0_68 Depth=2
                                        ; =>    This Inner Loop Header: Depth=3
	s_waitcnt vmcnt(0) lgkmcnt(0)
	v_add_co_u32_e32 v4, vcc, 8, v40
	v_addc_co_u32_e32 v5, vcc, 0, v41, vcc
	v_cmp_lt_u64_e32 vcc, v[4:5], v[0:1]
	v_mov_b32_e32 v58, 0
	s_or_b64 s[44:45], s[44:45], exec
	s_and_saveexec_b64 s[46:47], vcc
	s_cbranch_execz .LBB0_82
; %bb.84:                               ;   in Loop: Header=BB0_83 Depth=3
	s_sleep 1
	flat_load_dwordx2 v[40:41], v[54:55] glc
	v_add_u32_e32 v3, 1, v3
	v_cmp_eq_u32_e32 vcc, s23, v3
	s_mov_b64 s[50:51], -1
	v_mov_b32_e32 v58, 0
	s_and_saveexec_b64 s[48:49], vcc
	s_cbranch_execz .LBB0_81
; %bb.85:                               ;   in Loop: Header=BB0_83 Depth=3
	s_trap 2
	ds_read_b64 v[4:5], v0
	v_mov_b32_e32 v3, 0
	v_mov_b32_e32 v58, 0
	s_waitcnt vmcnt(0) lgkmcnt(0)
	flat_load_dword v4, v[4:5] glc
	s_waitcnt vmcnt(0) lgkmcnt(0)
	buffer_invl2
	buffer_wbinvl1_vol
	v_cmp_ne_u32_e32 vcc, 0, v4
	s_and_saveexec_b64 s[52:53], vcc
	s_cbranch_execz .LBB0_80
; %bb.86:                               ;   in Loop: Header=BB0_83 Depth=3
	v_mov_b32_e32 v58, 1
	s_xor_b64 s[50:51], exec, -1
	ds_write_b32 v0, v4
	s_trap 2
	s_branch .LBB0_80
.LBB0_87:                               ;   in Loop: Header=BB0_68 Depth=2
	s_or_b64 exec, exec, s[42:43]
.LBB0_88:                               ;   in Loop: Header=BB0_68 Depth=2
	s_or_b64 exec, exec, s[40:41]
.LBB0_89:                               ;   in Loop: Header=BB0_68 Depth=2
	s_or_b64 exec, exec, s[38:39]
	s_and_saveexec_b64 s[38:39], s[8:9]
	s_cbranch_execz .LBB0_91
; %bb.90:                               ;   in Loop: Header=BB0_68 Depth=2
	v_and_b32_e32 v46, 0x7ffffff8, v14
	v_cmp_eq_u64_e32 vcc, s[36:37], v[46:47]
	v_accvgpr_read_b32 v3, a40
	v_cndmask_b32_e32 v3, v3, v62, vcc
	v_lshlrev_b32_e32 v4, 4, v3
	v_and_b32_e32 v3, 7, v14
	v_ashrrev_i32_e32 v5, 31, v4
	v_mad_u64_u32 v[14:15], vcc, v3, 24, v[12:13]
	flat_store_dwordx2 v[14:15], v[4:5] offset:8
	s_waitcnt vmcnt(0)
.LBB0_91:                               ;   in Loop: Header=BB0_68 Depth=2
	s_or_b64 exec, exec, s[38:39]
	v_pk_mov_b32 v[14:15], v[0:1], v[0:1] op_sel:[0,1]
	s_or_b64 exec, exec, s[20:21]
	s_and_saveexec_b64 s[20:21], s[10:11]
	s_cbranch_execz .LBB0_70
.LBB0_92:                               ;   in Loop: Header=BB0_68 Depth=2
	s_and_saveexec_b64 vcc, s[30:31]
	s_xor_b64 s[38:39], exec, vcc
	s_cbranch_execz .LBB0_107
; %bb.93:                               ;   in Loop: Header=BB0_68 Depth=2
	s_and_saveexec_b64 s[40:41], s[12:13]
	s_cbranch_execz .LBB0_106
; %bb.94:                               ;   in Loop: Header=BB0_68 Depth=2
	s_mov_b64 s[44:45], exec
	v_mbcnt_lo_u32_b32 v0, s44, 0
	v_mbcnt_hi_u32_b32 v0, s45, v0
	v_cmp_eq_u32_e32 vcc, 0, v0
	s_waitcnt vmcnt(0) lgkmcnt(0)
	buffer_wbinvl1_vol
	s_and_saveexec_b64 s[42:43], vcc
	s_cbranch_execz .LBB0_96
; %bb.95:                               ;   in Loop: Header=BB0_68 Depth=2
	s_bcnt1_i32_b64 vcc_lo, s[44:45]
	v_mov_b32_e32 v46, vcc_lo
	ds_add_u64 v0, v[46:47]
	s_trap 2
.LBB0_96:                               ;   in Loop: Header=BB0_68 Depth=2
	s_or_b64 exec, exec, s[42:43]
	s_trap 2
	ds_read_b64 v[0:1], v0
	v_accvgpr_read_b32 v4, a22
	v_add_co_u32_e32 v42, vcc, v42, v4
	v_accvgpr_read_b32 v3, a23
	v_addc_co_u32_e32 v43, vcc, v43, v3, vcc
	s_waitcnt lgkmcnt(0)
	v_cmp_lt_u64_e32 vcc, v[0:1], v[42:43]
	s_and_saveexec_b64 s[42:43], vcc
	s_cbranch_execz .LBB0_105
; %bb.97:                               ;   in Loop: Header=BB0_68 Depth=2
	s_mov_b32 s55, 0
	s_mov_b64 s[44:45], 0
                                        ; implicit-def: $sgpr46_sgpr47
                                        ; implicit-def: $sgpr48_sgpr49
	s_branch .LBB0_99
.LBB0_98:                               ;   in Loop: Header=BB0_99 Depth=3
	s_or_b64 exec, exec, s[52:53]
	s_and_b64 vcc, exec, vcc
	s_or_b64 s[44:45], vcc, s[44:45]
	s_andn2_b64 vcc, s[46:47], exec
	s_and_b64 s[46:47], s[48:49], exec
	s_or_b64 s[46:47], vcc, s[46:47]
	s_andn2_b64 exec, exec, s[44:45]
	s_cbranch_execz .LBB0_103
.LBB0_99:                               ;   Parent Loop BB0_23 Depth=1
                                        ;     Parent Loop BB0_68 Depth=2
                                        ; =>    This Inner Loop Header: Depth=3
	s_add_i32 s55, s55, 1
	s_cmpk_lg_i32 s55, 0x2710
	s_cselect_b64 s[50:51], -1, 0
	s_and_b64 vcc, exec, s[50:51]
                                        ; implicit-def: $sgpr52_sgpr53
	s_cbranch_vccnz .LBB0_101
; %bb.100:                              ;   in Loop: Header=BB0_99 Depth=3
	s_trap 2
	ds_read_b64 v[0:1], v0
	s_andn2_b64 s[50:51], s[50:51], exec
	s_mov_b32 s55, 0
	s_mov_b64 s[52:53], -1
	s_waitcnt lgkmcnt(0)
	flat_load_dword v0, v[0:1] glc
	s_waitcnt vmcnt(0) lgkmcnt(0)
	buffer_invl2
	buffer_wbinvl1_vol
	v_cmp_eq_u32_e32 vcc, 0, v0
	s_and_b64 vcc, vcc, exec
	s_or_b64 s[50:51], s[50:51], vcc
.LBB0_101:                              ;   in Loop: Header=BB0_99 Depth=3
	s_andn2_b64 s[48:49], s[48:49], exec
	s_and_b64 s[52:53], s[52:53], exec
	s_mov_b64 vcc, -1
	s_or_b64 s[48:49], s[48:49], s[52:53]
	s_and_saveexec_b64 s[52:53], s[50:51]
	s_cbranch_execz .LBB0_98
; %bb.102:                              ;   in Loop: Header=BB0_99 Depth=3
	s_sleep 1
	s_trap 2
	ds_read_b64 v[0:1], v0
	s_andn2_b64 s[48:49], s[48:49], exec
	s_waitcnt lgkmcnt(0)
	v_cmp_ge_u64_e32 vcc, v[0:1], v[42:43]
	s_orn2_b64 vcc, vcc, exec
	s_branch .LBB0_98
.LBB0_103:                              ;   in Loop: Header=BB0_68 Depth=2
	s_or_b64 exec, exec, s[44:45]
	s_and_saveexec_b64 vcc, s[46:47]
	s_xor_b64 vcc, exec, vcc
	s_cbranch_execz .LBB0_105
; %bb.104:                              ;   in Loop: Header=BB0_68 Depth=2
	v_mov_b32_e32 v0, 1
	ds_write_b32 v0, v0
	s_trap 2
.LBB0_105:                              ;   in Loop: Header=BB0_68 Depth=2
	s_or_b64 exec, exec, s[42:43]
	;;#ASMSTART
	s_wakeup
	;;#ASMEND
.LBB0_106:                              ;   in Loop: Header=BB0_68 Depth=2
	s_or_b64 exec, exec, s[40:41]
.LBB0_107:                              ;   in Loop: Header=BB0_68 Depth=2
	s_andn2_saveexec_b64 vcc, s[38:39]
	s_cbranch_execz .LBB0_109
; %bb.108:                              ;   in Loop: Header=BB0_68 Depth=2
	s_waitcnt vmcnt(0) lgkmcnt(0)
	buffer_wbinvl1_vol
	s_barrier
.LBB0_109:                              ;   in Loop: Header=BB0_68 Depth=2
	s_or_b64 exec, exec, vcc
	s_or_b64 exec, exec, s[20:21]
	v_mov_b32_e32 v0, v22
	s_and_saveexec_b64 s[38:39], s[18:19]
	s_cbranch_execz .LBB0_71
.LBB0_110:                              ;   in Loop: Header=BB0_68 Depth=2
	s_waitcnt vmcnt(0) lgkmcnt(0)
	v_ashrrev_i32_e32 v0, 31, v2
	v_mul_lo_u32 v3, v57, v2
	v_mul_lo_u32 v4, v56, v0
	v_mad_u64_u32 v[0:1], s[20:21], v56, v2, 0
	v_add3_u32 v1, v1, v4, v3
	v_lshlrev_b64 v[0:1], 3, v[0:1]
	v_add_co_u32_e32 v44, vcc, v21, v0
	v_and_b32_e32 v0, 7, v38
	v_mul_lo_u32 v0, v0, v62
	v_addc_co_u32_e32 v45, vcc, v9, v1, vcc
	v_ashrrev_i32_e32 v1, 31, v0
	v_lshlrev_b64 v[0:1], 4, v[0:1]
	v_accvgpr_read_b32 v2, a14
	v_accvgpr_write_b32 a30, v53
	v_add_co_u32_e32 v53, vcc, v2, v0
	v_and_b32_e32 v0, 7, v60
	v_accvgpr_read_b32 v3, a15
	v_mul_lo_u32 v0, v0, v62
	v_addc_co_u32_e32 v46, vcc, v3, v1, vcc
	v_ashrrev_i32_e32 v1, 31, v0
	v_lshlrev_b64 v[0:1], 4, v[0:1]
	v_accvgpr_write_b32 a0, v36
	v_add_co_u32_e32 v33, vcc, v48, v0
	v_accvgpr_write_b32 a1, v37
	v_addc_co_u32_e32 v36, vcc, v49, v1, vcc
	v_accvgpr_write_b32 a43, v19
	v_mov_b32_e32 v1, v60
	v_add_co_u32_e64 v37, vcc, 0, 0
	v_accvgpr_write_b32 a42, v18
	v_add_u32_e32 v32, 1, v38
	v_addc_co_u32_e32 v3, vcc, 1, v1, vcc
	s_mov_b64 s[40:41], 0
	v_mov_b32_e32 v29, v58
	v_mov_b32_e32 v7, v6
	;; [unrolled: 1-line block ×3, first 2 shown]
	s_branch .LBB0_114
.LBB0_111:                              ;   in Loop: Header=BB0_114 Depth=3
	s_or_b64 exec, exec, s[46:47]
.LBB0_112:                              ;   in Loop: Header=BB0_114 Depth=3
	s_or_b64 exec, exec, s[44:45]
.LBB0_113:                              ;   in Loop: Header=BB0_114 Depth=3
	s_or_b64 exec, exec, s[42:43]
	v_add_co_u32_e32 v44, vcc, v44, v34
	v_addc_co_u32_e32 v45, vcc, v45, v35, vcc
	s_waitcnt vmcnt(0)
	v_add_co_u32_e32 v1, vcc, v16, v4
	v_addc_co_u32_e32 v4, vcc, 0, v5, vcc
	v_add_co_u32_e32 v16, vcc, v33, v22
	v_addc_co_u32_e32 v17, vcc, v36, v23, vcc
	v_sub_u32_e32 v7, v7, v20
	v_or_b32_e32 v2, v1, v37
	v_add_u32_e32 v1, v4, v18
	v_cmp_gt_i32_e32 vcc, 1, v7
	v_or_b32_e32 v4, v37, v1
	v_mov_b32_e32 v5, v3
	s_or_b64 s[40:41], vcc, s[40:41]
	v_add_u32_e32 v0, v0, v20
	global_store_dwordx4 v[16:17], v[2:5], off
	s_andn2_b64 exec, exec, s[40:41]
	s_cbranch_execz .LBB0_124
.LBB0_114:                              ;   Parent Loop BB0_23 Depth=1
                                        ;     Parent Loop BB0_68 Depth=2
                                        ; =>    This Loop Header: Depth=3
                                        ;         Child Loop BB0_118 Depth 4
	v_ashrrev_i32_e32 v1, 31, v0
	v_lshlrev_b64 v[22:23], 4, v[0:1]
	v_add_co_u32_e32 v24, vcc, v53, v22
	v_addc_co_u32_e32 v25, vcc, v46, v23, vcc
	global_load_dwordx2 v[4:5], v[44:45], off glc slc
	global_load_dwordx4 v[16:19], v[24:25], off glc slc
	v_cmp_eq_u32_e32 vcc, 0, v29
	s_and_saveexec_b64 s[42:43], vcc
	s_cbranch_execz .LBB0_113
; %bb.115:                              ;   in Loop: Header=BB0_114 Depth=3
	s_waitcnt vmcnt(0)
	v_cmp_ne_u32_e32 vcc, v32, v17
	v_cmp_ne_u32_e64 s[20:21], v32, v19
	s_or_b64 s[20:21], vcc, s[20:21]
	v_mov_b32_e32 v29, 0
	s_and_saveexec_b64 s[44:45], s[20:21]
	s_cbranch_execz .LBB0_112
; %bb.116:                              ;   in Loop: Header=BB0_114 Depth=3
	s_mov_b32 s50, 1
	s_mov_b64 s[46:47], 0
	v_mov_b32_e32 v29, 0
	s_branch .LBB0_118
.LBB0_117:                              ;   in Loop: Header=BB0_118 Depth=4
	s_or_b64 exec, exec, s[48:49]
	s_and_b64 s[20:21], exec, s[20:21]
	s_or_b64 s[46:47], s[20:21], s[46:47]
	s_andn2_b64 exec, exec, s[46:47]
	s_cbranch_execz .LBB0_111
.LBB0_118:                              ;   Parent Loop BB0_23 Depth=1
                                        ;     Parent Loop BB0_68 Depth=2
                                        ;       Parent Loop BB0_114 Depth=3
                                        ; =>      This Inner Loop Header: Depth=4
	global_load_dwordx4 v[16:19], v[24:25], off glc slc
	s_add_i32 s50, s50, 1
	s_cmpk_lg_i32 s50, 0x2710
	s_cbranch_scc1 .LBB0_122
; %bb.119:                              ;   in Loop: Header=BB0_118 Depth=4
	s_trap 2
	ds_read_b64 v[26:27], v0
	v_mov_b32_e32 v29, v58
	s_waitcnt vmcnt(0) lgkmcnt(0)
	flat_load_dword v1, v[26:27] glc
	s_waitcnt vmcnt(0) lgkmcnt(0)
	buffer_invl2
	buffer_wbinvl1_vol
	v_cmp_ne_u32_e32 vcc, 0, v1
	s_and_saveexec_b64 s[20:21], vcc
	s_cbranch_execz .LBB0_121
; %bb.120:                              ;   in Loop: Header=BB0_118 Depth=4
	v_or_b32_e32 v29, 1, v58
	v_mov_b32_e32 v58, 1
	ds_write_b32 v0, v1
	s_trap 2
.LBB0_121:                              ;   in Loop: Header=BB0_118 Depth=4
	s_or_b64 exec, exec, s[20:21]
	v_mov_b32_e32 v1, v58
	s_mov_b32 s50, 0
	v_mov_b32_e32 v58, v29
	v_cmp_eq_u32_e32 vcc, 0, v1
	s_mov_b64 s[20:21], -1
	s_and_saveexec_b64 s[48:49], vcc
	s_cbranch_execz .LBB0_117
	s_branch .LBB0_123
.LBB0_122:                              ;   in Loop: Header=BB0_118 Depth=4
	v_mov_b32_e32 v1, 0
	v_cmp_eq_u32_e32 vcc, 0, v1
	s_mov_b64 s[20:21], -1
	s_and_saveexec_b64 s[48:49], vcc
	s_cbranch_execz .LBB0_117
.LBB0_123:                              ;   in Loop: Header=BB0_118 Depth=4
	s_waitcnt vmcnt(0)
	v_cmp_eq_u32_e32 vcc, v32, v17
	v_cmp_eq_u32_e64 s[20:21], v32, v19
	s_and_b64 s[20:21], vcc, s[20:21]
	s_orn2_b64 s[20:21], s[20:21], exec
	s_branch .LBB0_117
.LBB0_124:                              ;   in Loop: Header=BB0_68 Depth=2
	s_or_b64 exec, exec, s[40:41]
	v_accvgpr_read_b32 v37, a1
	v_accvgpr_read_b32 v45, a39
	;; [unrolled: 1-line block ×3, first 2 shown]
	v_mov_b32_e32 v22, v30
	v_accvgpr_read_b32 v36, a0
	v_accvgpr_read_b32 v53, a30
	;; [unrolled: 1-line block ×4, first 2 shown]
	s_or_b64 exec, exec, s[38:39]
	s_and_saveexec_b64 s[20:21], s[10:11]
	s_cbranch_execz .LBB0_72
.LBB0_125:                              ;   in Loop: Header=BB0_68 Depth=2
	s_and_saveexec_b64 vcc, s[30:31]
	s_xor_b64 s[38:39], exec, vcc
	s_cbranch_execz .LBB0_140
; %bb.126:                              ;   in Loop: Header=BB0_68 Depth=2
	s_and_saveexec_b64 s[40:41], s[12:13]
	s_cbranch_execz .LBB0_139
; %bb.127:                              ;   in Loop: Header=BB0_68 Depth=2
	s_mov_b64 s[44:45], exec
	v_mbcnt_lo_u32_b32 v1, s44, 0
	v_mbcnt_hi_u32_b32 v1, s45, v1
	v_cmp_eq_u32_e32 vcc, 0, v1
	s_waitcnt vmcnt(0) lgkmcnt(0)
	buffer_wbinvl1_vol
	s_and_saveexec_b64 s[42:43], vcc
	s_cbranch_execz .LBB0_129
; %bb.128:                              ;   in Loop: Header=BB0_68 Depth=2
	s_bcnt1_i32_b64 vcc_lo, s[44:45]
	v_mov_b32_e32 v46, vcc_lo
	ds_add_u64 v0, v[46:47]
	s_trap 2
.LBB0_129:                              ;   in Loop: Header=BB0_68 Depth=2
	s_or_b64 exec, exec, s[42:43]
	s_trap 2
	ds_read_b64 v[2:3], v0
	v_accvgpr_read_b32 v4, a22
	v_add_co_u32_e32 v42, vcc, v42, v4
	v_accvgpr_read_b32 v1, a23
	v_addc_co_u32_e32 v43, vcc, v43, v1, vcc
	s_waitcnt lgkmcnt(0)
	v_cmp_lt_u64_e32 vcc, v[2:3], v[42:43]
	s_and_saveexec_b64 s[42:43], vcc
	s_cbranch_execz .LBB0_138
; %bb.130:                              ;   in Loop: Header=BB0_68 Depth=2
	s_mov_b32 s55, 0
	s_mov_b64 s[44:45], 0
                                        ; implicit-def: $sgpr46_sgpr47
                                        ; implicit-def: $sgpr48_sgpr49
	s_branch .LBB0_132
.LBB0_131:                              ;   in Loop: Header=BB0_132 Depth=3
	s_or_b64 exec, exec, s[52:53]
	s_and_b64 vcc, exec, vcc
	s_or_b64 s[44:45], vcc, s[44:45]
	s_andn2_b64 vcc, s[46:47], exec
	s_and_b64 s[46:47], s[48:49], exec
	s_or_b64 s[46:47], vcc, s[46:47]
	s_andn2_b64 exec, exec, s[44:45]
	s_cbranch_execz .LBB0_136
.LBB0_132:                              ;   Parent Loop BB0_23 Depth=1
                                        ;     Parent Loop BB0_68 Depth=2
                                        ; =>    This Inner Loop Header: Depth=3
	s_add_i32 s55, s55, 1
	s_cmpk_lg_i32 s55, 0x2710
	s_cselect_b64 s[50:51], -1, 0
	s_and_b64 vcc, exec, s[50:51]
                                        ; implicit-def: $sgpr52_sgpr53
	s_cbranch_vccnz .LBB0_134
; %bb.133:                              ;   in Loop: Header=BB0_132 Depth=3
	s_trap 2
	ds_read_b64 v[2:3], v0
	s_andn2_b64 s[50:51], s[50:51], exec
	s_mov_b32 s55, 0
	s_mov_b64 s[52:53], -1
	s_waitcnt lgkmcnt(0)
	flat_load_dword v1, v[2:3] glc
	s_waitcnt vmcnt(0) lgkmcnt(0)
	buffer_invl2
	buffer_wbinvl1_vol
	v_cmp_eq_u32_e32 vcc, 0, v1
	s_and_b64 vcc, vcc, exec
	s_or_b64 s[50:51], s[50:51], vcc
.LBB0_134:                              ;   in Loop: Header=BB0_132 Depth=3
	s_andn2_b64 s[48:49], s[48:49], exec
	s_and_b64 s[52:53], s[52:53], exec
	s_mov_b64 vcc, -1
	s_or_b64 s[48:49], s[48:49], s[52:53]
	s_and_saveexec_b64 s[52:53], s[50:51]
	s_cbranch_execz .LBB0_131
; %bb.135:                              ;   in Loop: Header=BB0_132 Depth=3
	s_sleep 1
	s_trap 2
	ds_read_b64 v[2:3], v0
	s_andn2_b64 s[48:49], s[48:49], exec
	s_waitcnt lgkmcnt(0)
	v_cmp_ge_u64_e32 vcc, v[2:3], v[42:43]
	s_orn2_b64 vcc, vcc, exec
	s_branch .LBB0_131
.LBB0_136:                              ;   in Loop: Header=BB0_68 Depth=2
	s_or_b64 exec, exec, s[44:45]
	s_and_saveexec_b64 vcc, s[46:47]
	s_xor_b64 vcc, exec, vcc
	s_cbranch_execz .LBB0_138
; %bb.137:                              ;   in Loop: Header=BB0_68 Depth=2
	v_mov_b32_e32 v1, 1
	ds_write_b32 v0, v1
	s_trap 2
.LBB0_138:                              ;   in Loop: Header=BB0_68 Depth=2
	s_or_b64 exec, exec, s[42:43]
	;;#ASMSTART
	s_wakeup
	;;#ASMEND
.LBB0_139:                              ;   in Loop: Header=BB0_68 Depth=2
	s_or_b64 exec, exec, s[40:41]
.LBB0_140:                              ;   in Loop: Header=BB0_68 Depth=2
	s_andn2_saveexec_b64 vcc, s[38:39]
	s_cbranch_execz .LBB0_142
; %bb.141:                              ;   in Loop: Header=BB0_68 Depth=2
	s_waitcnt vmcnt(0) lgkmcnt(0)
	buffer_wbinvl1_vol
	s_barrier
.LBB0_142:                              ;   in Loop: Header=BB0_68 Depth=2
	s_or_b64 exec, exec, vcc
	s_or_b64 exec, exec, s[20:21]
	s_and_saveexec_b64 s[20:21], s[14:15]
	s_cbranch_execnz .LBB0_73
	s_branch .LBB0_74
.LBB0_143:                              ;   in Loop: Header=BB0_23 Depth=1
	v_pk_mov_b32 v[16:17], v[60:61], v[60:61] op_sel:[0,1]
	v_accvgpr_read_b32 v61, a7
	v_accvgpr_read_b32 v60, a6
	s_and_saveexec_b64 s[20:21], s[18:19]
	s_cbranch_execnz .LBB0_145
	s_branch .LBB0_164
.LBB0_144:                              ;   in Loop: Header=BB0_23 Depth=1
	v_pk_mov_b32 v[16:17], v[60:61], v[60:61] op_sel:[0,1]
	v_accvgpr_read_b32 v33, a19
	v_accvgpr_read_b32 v61, a7
	;; [unrolled: 1-line block ×4, first 2 shown]
	s_and_saveexec_b64 s[20:21], s[18:19]
	s_cbranch_execz .LBB0_164
.LBB0_145:                              ;   in Loop: Header=BB0_23 Depth=1
	flat_load_dword v4, v[36:37]
	s_waitcnt vmcnt(0) lgkmcnt(0)
	v_accvgpr_read_b32 v2, a8
	v_accvgpr_read_b32 v3, a9
	v_add_co_u32_e32 v5, vcc, v2, v18
	v_addc_co_u32_e32 v7, vcc, v3, v19, vcc
	v_accvgpr_read_b32 v0, a28
	v_and_b32_e32 v2, 7, v38
	v_add_co_u32_e32 v0, vcc, v0, v18
	v_accvgpr_read_b32 v1, a29
	v_mul_lo_u32 v2, v2, v62
	v_addc_co_u32_e32 v1, vcc, v1, v19, vcc
	v_ashrrev_i32_e32 v3, 31, v2
	v_accvgpr_read_b32 v19, a15
	v_lshlrev_b64 v[2:3], 4, v[2:3]
	v_accvgpr_read_b32 v18, a14
	v_add_co_u32_e32 v21, vcc, v18, v2
	v_addc_co_u32_e32 v52, vcc, v19, v3, vcc
	v_add_u32_e32 v9, 1, v38
	s_mov_b64 s[38:39], 0
	v_mov_b32_e32 v24, v22
	v_ashrrev_i32_e32 v18, 31, v4
	v_mul_lo_u32 v19, v57, v4
	v_mad_u64_u32 v[2:3], s[18:19], v56, v4, 0
	v_mul_lo_u32 v4, v56, v18
	v_add3_u32 v3, v3, v4, v19
	v_lshlrev_b64 v[2:3], 3, v[2:3]
	v_add_co_u32_e32 v2, vcc, v5, v2
	v_addc_co_u32_e32 v3, vcc, v7, v3, vcc
	v_accvgpr_read_b32 v4, a24
	v_accvgpr_read_b32 v5, a25
	v_add_co_u32_e32 v18, vcc, v2, v4
	v_addc_co_u32_e32 v19, vcc, v3, v5, vcc
	s_branch .LBB0_147
.LBB0_146:                              ;   in Loop: Header=BB0_147 Depth=2
	v_add_co_u32_e32 v18, vcc, v18, v34
	v_addc_co_u32_e32 v19, vcc, v19, v35, vcc
	v_add_co_u32_e32 v0, vcc, v0, v34
	v_addc_co_u32_e32 v1, vcc, v1, v35, vcc
	v_sub_u32_e32 v6, v6, v20
	v_cmp_gt_i32_e32 vcc, 1, v6
	s_or_b64 s[38:39], vcc, s[38:39]
	v_add_u32_e32 v24, v24, v20
	s_andn2_b64 exec, exec, s[38:39]
	s_cbranch_execz .LBB0_163
.LBB0_147:                              ;   Parent Loop BB0_23 Depth=1
                                        ; =>  This Loop Header: Depth=2
                                        ;       Child Loop BB0_151 Depth 3
	v_ashrrev_i32_e32 v25, 31, v24
	v_lshlrev_b64 v[2:3], 4, v[24:25]
	v_add_co_u32_e32 v44, vcc, v21, v2
	v_addc_co_u32_e32 v45, vcc, v52, v3, vcc
	global_load_dwordx2 v[22:23], v[18:19], off glc slc
	global_load_dwordx4 v[2:5], v[44:45], off glc slc
	v_cmp_eq_u32_e32 vcc, 0, v58
	s_and_saveexec_b64 s[40:41], vcc
	s_cbranch_execz .LBB0_159
; %bb.148:                              ;   in Loop: Header=BB0_147 Depth=2
	s_waitcnt vmcnt(0)
	v_cmp_ne_u32_e32 vcc, v9, v3
	v_cmp_ne_u32_e64 s[18:19], v9, v5
	s_or_b64 s[18:19], vcc, s[18:19]
	v_mov_b32_e32 v58, 0
	s_and_saveexec_b64 s[42:43], s[18:19]
	s_cbranch_execz .LBB0_158
; %bb.149:                              ;   in Loop: Header=BB0_147 Depth=2
	s_mov_b32 s48, 1
	s_mov_b64 s[44:45], 0
	v_mov_b32_e32 v58, 0
	s_branch .LBB0_151
.LBB0_150:                              ;   in Loop: Header=BB0_151 Depth=3
	s_or_b64 exec, exec, s[46:47]
	s_and_b64 s[18:19], exec, s[18:19]
	s_or_b64 s[44:45], s[18:19], s[44:45]
	s_andn2_b64 exec, exec, s[44:45]
	s_cbranch_execz .LBB0_157
.LBB0_151:                              ;   Parent Loop BB0_23 Depth=1
                                        ;     Parent Loop BB0_147 Depth=2
                                        ; =>    This Inner Loop Header: Depth=3
	global_load_dwordx4 v[2:5], v[44:45], off glc slc
	s_add_i32 s48, s48, 1
	s_cmpk_lg_i32 s48, 0x2710
	s_cbranch_scc1 .LBB0_155
; %bb.152:                              ;   in Loop: Header=BB0_151 Depth=3
	s_trap 2
	ds_read_b64 v[32:33], v0
	s_waitcnt vmcnt(0) lgkmcnt(0)
	flat_load_dword v7, v[32:33] glc
	s_waitcnt vmcnt(0) lgkmcnt(0)
	buffer_invl2
	buffer_wbinvl1_vol
	v_cmp_ne_u32_e32 vcc, 0, v7
	s_and_saveexec_b64 s[18:19], vcc
	s_cbranch_execz .LBB0_154
; %bb.153:                              ;   in Loop: Header=BB0_151 Depth=3
	v_mov_b32_e32 v58, 1
	ds_write_b32 v0, v7
	s_trap 2
.LBB0_154:                              ;   in Loop: Header=BB0_151 Depth=3
	s_or_b64 exec, exec, s[18:19]
	s_mov_b32 s48, 0
	v_mov_b32_e32 v7, v58
	v_cmp_eq_u32_e32 vcc, 0, v7
	s_mov_b64 s[18:19], -1
	s_and_saveexec_b64 s[46:47], vcc
	s_cbranch_execz .LBB0_150
	s_branch .LBB0_156
.LBB0_155:                              ;   in Loop: Header=BB0_151 Depth=3
	v_mov_b32_e32 v7, 0
	v_cmp_eq_u32_e32 vcc, 0, v7
	s_mov_b64 s[18:19], -1
	s_and_saveexec_b64 s[46:47], vcc
	s_cbranch_execz .LBB0_150
.LBB0_156:                              ;   in Loop: Header=BB0_151 Depth=3
	s_waitcnt vmcnt(0)
	v_cmp_eq_u32_e32 vcc, v9, v3
	v_cmp_eq_u32_e64 s[18:19], v9, v5
	s_and_b64 s[18:19], vcc, s[18:19]
	s_orn2_b64 s[18:19], s[18:19], exec
	s_branch .LBB0_150
.LBB0_157:                              ;   in Loop: Header=BB0_147 Depth=2
	s_or_b64 exec, exec, s[44:45]
.LBB0_158:                              ;   in Loop: Header=BB0_147 Depth=2
	s_or_b64 exec, exec, s[42:43]
.LBB0_159:                              ;   in Loop: Header=BB0_147 Depth=2
	s_or_b64 exec, exec, s[40:41]
	s_waitcnt vmcnt(0)
	v_add_co_u32_e32 v2, vcc, v2, v22
	v_mov_b32_e32 v3, v4
	v_addc_co_u32_e32 v4, vcc, 0, v23, vcc
	v_add_co_u32_e32 v2, vcc, 0, v2
	v_addc_co_u32_e32 v3, vcc, v4, v3, vcc
	v_cmp_gt_i64_e32 vcc, 0, v[2:3]
	v_sub_co_u32_e64 v4, s[18:19], 0, v2
	s_and_b64 vcc, s[16:17], vcc
	v_subb_co_u32_e64 v5, s[18:19], 0, v3, s[18:19]
	v_cndmask_b32_e32 v25, v2, v4, vcc
	v_cndmask_b32_e32 v7, v3, v5, vcc
	v_mul_hi_u32 v46, v25, v28
	v_mad_u64_u32 v[2:3], s[18:19], v7, v28, v[46:47]
	v_mov_b32_e32 v46, v2
	v_mov_b32_e32 v2, v3
	;; [unrolled: 1-line block ×3, first 2 shown]
	v_mad_u64_u32 v[4:5], s[18:19], v25, v8, v[46:47]
	v_mad_u64_u32 v[2:3], s[18:19], v7, v8, v[2:3]
	v_mov_b32_e32 v4, v5
	v_add_co_u32_e64 v26, s[18:19], v2, v4
	v_addc_co_u32_e64 v27, s[18:19], 0, v3, s[18:19]
	v_mad_u64_u32 v[2:3], s[18:19], v26, v60, 0
	v_mov_b32_e32 v4, v3
	v_mad_u64_u32 v[4:5], s[18:19], v27, v60, v[4:5]
	v_mov_b32_e32 v3, v4
	v_sub_co_u32_e64 v2, s[18:19], v25, v2
	v_subb_co_u32_e64 v3, s[18:19], v7, v3, s[18:19]
	v_cmp_ge_u64_e64 s[18:19], v[2:3], v[60:61]
	v_cndmask_b32_e64 v2, 0, 1, s[18:19]
	v_add_co_u32_e64 v2, s[18:19], v26, v2
	v_addc_co_u32_e64 v3, s[18:19], 0, v27, s[18:19]
	v_sub_co_u32_e64 v4, s[18:19], 0, v2
	v_subb_co_u32_e64 v5, s[18:19], 0, v3, s[18:19]
	v_cndmask_b32_e32 v2, v2, v4, vcc
	v_mov_b32_e32 v4, v53
	v_cndmask_b32_e32 v3, v3, v5, vcc
	;;#ASMSTART
	;;#ASMEND
	v_cmp_ne_u32_e32 vcc, 0, v4
	s_cmp_lg_u64 vcc, exec
	s_mov_b64 s[18:19], -1
	s_cbranch_scc0 .LBB0_161
; %bb.160:                              ;   in Loop: Header=BB0_147 Depth=2
	flat_store_dwordx2 v[0:1], v[2:3]
	s_mov_b64 s[18:19], 0
.LBB0_161:                              ;   in Loop: Header=BB0_147 Depth=2
	s_andn2_b64 vcc, exec, s[18:19]
	s_cbranch_vccnz .LBB0_146
; %bb.162:                              ;   in Loop: Header=BB0_147 Depth=2
	global_store_dwordx2 v[0:1], v[2:3], off
	s_branch .LBB0_146
.LBB0_163:                              ;   in Loop: Header=BB0_23 Depth=1
	s_or_b64 exec, exec, s[38:39]
	v_accvgpr_read_b32 v33, a19
	v_accvgpr_read_b32 v45, a39
	v_mov_b32_e32 v22, v30
	v_accvgpr_read_b32 v32, a18
	v_accvgpr_read_b32 v44, a38
.LBB0_164:                              ;   in Loop: Header=BB0_23 Depth=1
	s_or_b64 exec, exec, s[20:21]
	s_and_saveexec_b64 s[18:19], s[10:11]
	s_cbranch_execnz .LBB0_166
; %bb.165:                              ;   in Loop: Header=BB0_23 Depth=1
	s_or_b64 exec, exec, s[18:19]
	s_and_saveexec_b64 s[18:19], s[14:15]
	s_cbranch_execz .LBB0_22
	s_branch .LBB0_184
.LBB0_166:                              ;   in Loop: Header=BB0_23 Depth=1
	s_and_saveexec_b64 s[20:21], s[30:31]
	s_xor_b64 s[20:21], exec, s[20:21]
	s_cbranch_execz .LBB0_181
; %bb.167:                              ;   in Loop: Header=BB0_23 Depth=1
	s_and_saveexec_b64 s[38:39], s[12:13]
	s_cbranch_execz .LBB0_180
; %bb.168:                              ;   in Loop: Header=BB0_23 Depth=1
	s_mov_b64 s[42:43], exec
	v_mbcnt_lo_u32_b32 v0, s42, 0
	v_mbcnt_hi_u32_b32 v0, s43, v0
	v_cmp_eq_u32_e32 vcc, 0, v0
	s_waitcnt vmcnt(0) lgkmcnt(0)
	buffer_wbinvl1_vol
	s_and_saveexec_b64 s[40:41], vcc
	s_cbranch_execz .LBB0_170
; %bb.169:                              ;   in Loop: Header=BB0_23 Depth=1
	s_bcnt1_i32_b64 vcc_lo, s[42:43]
	v_mov_b32_e32 v46, vcc_lo
	ds_add_u64 v0, v[46:47]
	s_trap 2
.LBB0_170:                              ;   in Loop: Header=BB0_23 Depth=1
	s_or_b64 exec, exec, s[40:41]
	s_trap 2
	ds_read_b64 v[0:1], v0
	v_accvgpr_read_b32 v2, a22
	v_add_co_u32_e32 v42, vcc, v42, v2
	v_accvgpr_read_b32 v3, a23
	v_addc_co_u32_e32 v43, vcc, v43, v3, vcc
	s_waitcnt lgkmcnt(0)
	v_cmp_lt_u64_e32 vcc, v[0:1], v[42:43]
	s_and_saveexec_b64 s[40:41], vcc
	s_cbranch_execz .LBB0_179
; %bb.171:                              ;   in Loop: Header=BB0_23 Depth=1
	s_mov_b32 s52, 0
	s_mov_b64 s[42:43], 0
                                        ; implicit-def: $sgpr44_sgpr45
                                        ; implicit-def: $sgpr46_sgpr47
	s_branch .LBB0_173
.LBB0_172:                              ;   in Loop: Header=BB0_173 Depth=2
	s_or_b64 exec, exec, s[50:51]
	s_and_b64 vcc, exec, vcc
	s_or_b64 s[42:43], vcc, s[42:43]
	s_andn2_b64 vcc, s[44:45], exec
	s_and_b64 s[44:45], s[46:47], exec
	s_or_b64 s[44:45], vcc, s[44:45]
	s_andn2_b64 exec, exec, s[42:43]
	s_cbranch_execz .LBB0_177
.LBB0_173:                              ;   Parent Loop BB0_23 Depth=1
                                        ; =>  This Inner Loop Header: Depth=2
	s_add_i32 s52, s52, 1
	s_cmpk_lg_i32 s52, 0x2710
	s_cselect_b64 s[48:49], -1, 0
	s_and_b64 vcc, exec, s[48:49]
                                        ; implicit-def: $sgpr50_sgpr51
	s_cbranch_vccnz .LBB0_175
; %bb.174:                              ;   in Loop: Header=BB0_173 Depth=2
	s_trap 2
	ds_read_b64 v[0:1], v0
	s_andn2_b64 s[48:49], s[48:49], exec
	s_mov_b32 s52, 0
	s_mov_b64 s[50:51], -1
	s_waitcnt lgkmcnt(0)
	flat_load_dword v0, v[0:1] glc
	s_waitcnt vmcnt(0) lgkmcnt(0)
	buffer_invl2
	buffer_wbinvl1_vol
	v_cmp_eq_u32_e32 vcc, 0, v0
	s_and_b64 vcc, vcc, exec
	s_or_b64 s[48:49], s[48:49], vcc
.LBB0_175:                              ;   in Loop: Header=BB0_173 Depth=2
	s_andn2_b64 s[46:47], s[46:47], exec
	s_and_b64 s[50:51], s[50:51], exec
	s_mov_b64 vcc, -1
	s_or_b64 s[46:47], s[46:47], s[50:51]
	s_and_saveexec_b64 s[50:51], s[48:49]
	s_cbranch_execz .LBB0_172
; %bb.176:                              ;   in Loop: Header=BB0_173 Depth=2
	s_sleep 1
	s_trap 2
	ds_read_b64 v[0:1], v0
	s_andn2_b64 s[46:47], s[46:47], exec
	s_waitcnt lgkmcnt(0)
	v_cmp_ge_u64_e32 vcc, v[0:1], v[42:43]
	s_orn2_b64 vcc, vcc, exec
	s_branch .LBB0_172
.LBB0_177:                              ;   in Loop: Header=BB0_23 Depth=1
	s_or_b64 exec, exec, s[42:43]
	s_and_saveexec_b64 vcc, s[44:45]
	s_xor_b64 vcc, exec, vcc
	s_cbranch_execz .LBB0_179
; %bb.178:                              ;   in Loop: Header=BB0_23 Depth=1
	v_mov_b32_e32 v0, 1
	ds_write_b32 v0, v0
	s_trap 2
.LBB0_179:                              ;   in Loop: Header=BB0_23 Depth=1
	s_or_b64 exec, exec, s[40:41]
	;;#ASMSTART
	s_wakeup
	;;#ASMEND
.LBB0_180:                              ;   in Loop: Header=BB0_23 Depth=1
	s_or_b64 exec, exec, s[38:39]
.LBB0_181:                              ;   in Loop: Header=BB0_23 Depth=1
	s_andn2_saveexec_b64 s[20:21], s[20:21]
	s_cbranch_execz .LBB0_183
; %bb.182:                              ;   in Loop: Header=BB0_23 Depth=1
	s_waitcnt vmcnt(0) lgkmcnt(0)
	buffer_wbinvl1_vol
	s_barrier
.LBB0_183:                              ;   in Loop: Header=BB0_23 Depth=1
	s_or_b64 exec, exec, s[20:21]
	s_or_b64 exec, exec, s[18:19]
	s_and_saveexec_b64 s[18:19], s[14:15]
	s_cbranch_execz .LBB0_22
.LBB0_184:                              ;   in Loop: Header=BB0_23 Depth=1
	v_add_co_u32_e32 v50, vcc, 1, v50
	v_accvgpr_read_b32 v0, a16
	v_addc_co_u32_e32 v51, vcc, 0, v51, vcc
	v_accvgpr_read_b32 v1, a17
	flat_store_dwordx2 v[0:1], v[50:51]
	s_branch .LBB0_22
.LBB0_185:
	s_or_b64 exec, exec, s[28:29]
	v_accvgpr_read_b32 v33, a11
	v_accvgpr_read_b32 v35, a13
	;; [unrolled: 1-line block ×4, first 2 shown]
.LBB0_186:
	s_or_b64 exec, exec, s[26:27]
; %bb.187:
	s_and_saveexec_b64 s[6:7], s[24:25]
	s_cbranch_execnz .LBB0_190
; %bb.188:
	s_or_b64 exec, exec, s[6:7]
	s_and_saveexec_b64 s[6:7], s[4:5]
	s_cbranch_execnz .LBB0_191
.LBB0_189:
	s_or_b64 exec, exec, s[6:7]
	v_cmp_ne_u32_e32 vcc, 64, v20
	s_and_saveexec_b64 s[4:5], vcc
	s_cbranch_execnz .LBB0_192
	s_branch .LBB0_209
.LBB0_190:
	s_waitcnt vmcnt(0) lgkmcnt(0)
	flat_store_dwordx2 v[34:35], v[50:51] offset:104
	s_or_b64 exec, exec, s[6:7]
	s_and_saveexec_b64 s[6:7], s[4:5]
	s_cbranch_execz .LBB0_189
.LBB0_191:
	s_waitcnt vmcnt(0) lgkmcnt(0)
	flat_store_dwordx2 v[32:33], v[14:15] offset:104
	s_or_b64 exec, exec, s[6:7]
	v_cmp_ne_u32_e32 vcc, 64, v20
	s_and_saveexec_b64 s[4:5], vcc
	s_cbranch_execz .LBB0_209
.LBB0_192:
	s_waitcnt vmcnt(0)
	v_cmp_ne_u32_sdwa s[6:7], v59, v20 src0_sel:WORD_0 src1_sel:DWORD
	s_and_saveexec_b64 s[8:9], s[6:7]
	s_xor_b64 s[6:7], exec, s[8:9]
	s_cbranch_execz .LBB0_207
; %bb.193:
	v_and_b32_e32 v0, 63, v31
	v_cmp_eq_u32_e32 vcc, 0, v0
	s_and_saveexec_b64 s[8:9], vcc
	s_cbranch_execz .LBB0_206
; %bb.194:
	s_mov_b64 s[12:13], exec
	v_mbcnt_lo_u32_b32 v0, s12, 0
	v_mbcnt_hi_u32_b32 v0, s13, v0
	v_cmp_eq_u32_e32 vcc, 0, v0
	s_waitcnt lgkmcnt(0)
	buffer_wbinvl1_vol
	s_and_saveexec_b64 s[10:11], vcc
	s_cbranch_execz .LBB0_196
; %bb.195:
	s_bcnt1_i32_b64 s12, s[12:13]
	v_mov_b32_e32 v0, s12
	v_mov_b32_e32 v1, 0
	ds_add_u64 v0, v[0:1]
	s_trap 2
.LBB0_196:
	s_or_b64 exec, exec, s[10:11]
	v_ashrrev_i32_e32 v0, 31, v20
	v_lshrrev_b32_e32 v0, 26, v0
	v_add_u32_e32 v0, v20, v0
	v_ashrrev_i32_e32 v0, 6, v0
	s_trap 2
	ds_read_b64 v[2:3], v0
	v_ashrrev_i32_e32 v1, 31, v0
	v_add_co_u32_e32 v0, vcc, v42, v0
	v_addc_co_u32_e32 v1, vcc, v43, v1, vcc
	s_waitcnt lgkmcnt(0)
	v_cmp_lt_u64_e32 vcc, v[2:3], v[0:1]
	s_and_saveexec_b64 s[10:11], vcc
	s_cbranch_execz .LBB0_205
; %bb.197:
	s_mov_b32 s24, 0
	s_mov_b64 s[12:13], 0
                                        ; implicit-def: $sgpr14_sgpr15
                                        ; implicit-def: $sgpr16_sgpr17
	s_branch .LBB0_199
.LBB0_198:                              ;   in Loop: Header=BB0_199 Depth=1
	s_or_b64 exec, exec, s[22:23]
	s_and_b64 s[18:19], exec, s[20:21]
	s_or_b64 s[12:13], s[18:19], s[12:13]
	s_andn2_b64 s[14:15], s[14:15], exec
	s_and_b64 s[18:19], s[16:17], exec
	s_or_b64 s[14:15], s[14:15], s[18:19]
	s_andn2_b64 exec, exec, s[12:13]
	s_cbranch_execz .LBB0_203
.LBB0_199:                              ; =>This Inner Loop Header: Depth=1
	s_add_i32 s24, s24, 1
	s_cmpk_lg_i32 s24, 0x2710
	s_cselect_b64 s[18:19], -1, 0
	s_and_b64 vcc, exec, s[18:19]
                                        ; implicit-def: $sgpr22_sgpr23
	s_cbranch_vccnz .LBB0_201
; %bb.200:                              ;   in Loop: Header=BB0_199 Depth=1
	s_trap 2
	ds_read_b64 v[2:3], v0
	s_andn2_b64 s[18:19], s[18:19], exec
	s_mov_b32 s24, 0
	s_mov_b64 s[22:23], -1
	s_waitcnt lgkmcnt(0)
	flat_load_dword v2, v[2:3] glc
	s_waitcnt vmcnt(0) lgkmcnt(0)
	buffer_invl2
	buffer_wbinvl1_vol
	v_cmp_eq_u32_e32 vcc, 0, v2
	s_and_b64 s[20:21], vcc, exec
	s_or_b64 s[18:19], s[18:19], s[20:21]
.LBB0_201:                              ;   in Loop: Header=BB0_199 Depth=1
	s_andn2_b64 s[16:17], s[16:17], exec
	s_and_b64 s[22:23], s[22:23], exec
	s_mov_b64 s[20:21], -1
	s_or_b64 s[16:17], s[16:17], s[22:23]
	s_and_saveexec_b64 s[22:23], s[18:19]
	s_cbranch_execz .LBB0_198
; %bb.202:                              ;   in Loop: Header=BB0_199 Depth=1
	s_sleep 1
	s_trap 2
	ds_read_b64 v[2:3], v0
	s_andn2_b64 s[16:17], s[16:17], exec
	s_waitcnt lgkmcnt(0)
	v_cmp_ge_u64_e32 vcc, v[2:3], v[0:1]
	s_orn2_b64 s[20:21], vcc, exec
	s_branch .LBB0_198
.LBB0_203:
	s_or_b64 exec, exec, s[12:13]
	s_and_saveexec_b64 s[12:13], s[14:15]
	s_xor_b64 s[12:13], exec, s[12:13]
	s_cbranch_execz .LBB0_205
; %bb.204:
	v_mov_b32_e32 v0, 1
	ds_write_b32 v0, v0
	s_trap 2
.LBB0_205:
	s_or_b64 exec, exec, s[10:11]
	;;#ASMSTART
	s_wakeup
	;;#ASMEND
.LBB0_206:
	s_or_b64 exec, exec, s[8:9]
.LBB0_207:
	s_andn2_saveexec_b64 s[6:7], s[6:7]
	s_cbranch_execz .LBB0_209
; %bb.208:
	s_waitcnt lgkmcnt(0)
	buffer_wbinvl1_vol
	s_barrier
.LBB0_209:
	s_or_b64 exec, exec, s[4:5]
	buffer_load_dword a43, off, s[0:3], s32 ; 4-byte Folded Reload
	buffer_load_dword a42, off, s[0:3], s32 offset:4 ; 4-byte Folded Reload
	buffer_load_dword a40, off, s[0:3], s32 offset:8 ; 4-byte Folded Reload
	;; [unrolled: 1-line block ×23, first 2 shown]
	s_waitcnt lgkmcnt(0)
	buffer_load_dword v41, off, s[0:3], s32 offset:96 ; 4-byte Folded Reload
	buffer_load_dword v40, off, s[0:3], s32 offset:100 ; 4-byte Folded Reload
	v_readlane_b32 s30, v63, 22
	v_readlane_b32 s31, v63, 23
	;; [unrolled: 1-line block ×24, first 2 shown]
	s_or_saveexec_b64 s[4:5], -1
	buffer_load_dword v63, off, s[0:3], s32 offset:104 ; 4-byte Folded Reload
	s_mov_b64 exec, s[4:5]
	s_waitcnt vmcnt(0)
	s_setpc_b64 s[30:31]
.Lfunc_end0:
	.size	_ZN12_GLOBAL__N_17runRingIm14FuncSumPostDivImE7ProtoLLLi0ELi1ELi0EEEviiP15ncclDevWorkColl, .Lfunc_end0-_ZN12_GLOBAL__N_17runRingIm14FuncSumPostDivImE7ProtoLLLi0ELi1ELi0EEEviiP15ncclDevWorkColl
                                        ; -- End function
	.section	.AMDGPU.csdata,"",@progbits
; Function info:
; codeLenInByte = 11356
; NumSgprs: 60
; NumVgprs: 64
; NumAgprs: 44
; TotalNumVgprs: 108
; ScratchSize: 112
; MemoryBound: 0
	.text
	.p2align	2                               ; -- Begin function _Z54ncclDevFunc_ReduceScatter_RING_LL_SumPostDiv_u64_0_0_1v
	.type	_Z54ncclDevFunc_ReduceScatter_RING_LL_SumPostDiv_u64_0_0_1v,@function
_Z54ncclDevFunc_ReduceScatter_RING_LL_SumPostDiv_u64_0_0_1v: ; @_Z54ncclDevFunc_ReduceScatter_RING_LL_SumPostDiv_u64_0_0_1v
; %bb.0:
	s_waitcnt vmcnt(0) expcnt(0) lgkmcnt(0)
	s_mov_b32 s4, s33
	s_mov_b32 s33, s32
	s_or_saveexec_b64 s[6:7], -1
	buffer_store_dword v42, off, s[0:3], s33 offset:12 ; 4-byte Folded Spill
	s_mov_b64 exec, s[6:7]
	v_writelane_b32 v42, s4, 32
	s_addk_i32 s32, 0x800
	buffer_store_dword v40, off, s[0:3], s33 offset:8 ; 4-byte Folded Spill
	buffer_store_dword v41, off, s[0:3], s33 offset:4 ; 4-byte Folded Spill
	buffer_store_dword v63, off, s[0:3], s33 ; 4-byte Folded Spill
	v_writelane_b32 v42, s34, 0
	v_writelane_b32 v42, s35, 1
	;; [unrolled: 1-line block ×32, first 2 shown]
	s_trap 2
	ds_read_b32 v0, v0
	v_and_b32_e32 v40, 0x3ff, v31
	s_mov_b32 s58, s12
	s_mov_b64 s[56:57], s[8:9]
	s_waitcnt lgkmcnt(0)
	v_cmp_lt_i32_e32 vcc, v40, v0
	s_and_saveexec_b64 s[4:5], vcc
	s_cbranch_execz .LBB1_5
; %bb.1:
	s_load_dword s6, s[56:57], 0x0
	v_mov_b32_e32 v1, 0
	v_mov_b32_e32 v4, v40
                                        ; implicit-def: $vgpr2
	s_waitcnt lgkmcnt(0)
	s_cmp_lt_u32 s58, s6
	s_cselect_b32 s6, 12, 18
	s_add_u32 s6, s56, s6
	s_addc_u32 s7, s57, 0
	global_load_ushort v1, v1, s[6:7]
	s_trap 2
	ds_read_b32 v3, v0
	s_mov_b64 s[6:7], 0
	s_waitcnt vmcnt(0) lgkmcnt(0)
	v_mul_lo_u32 v3, v3, v1
	s_branch .LBB1_3
.LBB1_2:                                ;   in Loop: Header=BB1_3 Depth=1
	s_or_b64 exec, exec, s[8:9]
	v_add_u32_e32 v4, v4, v1
	v_cmp_ge_i32_e32 vcc, v4, v0
	s_or_b64 s[6:7], vcc, s[6:7]
	v_add_u32_e32 v2, v2, v3
	s_andn2_b64 exec, exec, s[6:7]
	s_cbranch_execz .LBB1_5
.LBB1_3:                                ; =>This Inner Loop Header: Depth=1
	ds_read_b32 v5, v2
	s_waitcnt lgkmcnt(0)
	v_and_b32_e32 v5, 0x1000000, v5
	v_cmp_ne_u32_e32 vcc, 0, v5
	s_and_saveexec_b64 s[8:9], vcc
	s_cbranch_execz .LBB1_2
; %bb.4:                                ;   in Loop: Header=BB1_3 Depth=1
	ds_read_b64 v[6:7], v2 offset:104
	s_waitcnt lgkmcnt(0)
	flat_load_dwordx2 v[6:7], v[6:7]
	s_waitcnt vmcnt(0) lgkmcnt(0)
	ds_write_b64 v2, v[6:7] offset:104
	s_branch .LBB1_2
.LBB1_5:
	s_or_b64 exec, exec, s[4:5]
	s_waitcnt lgkmcnt(0)
	s_barrier
	s_trap 2
	ds_read_b32 v0, v0
	s_waitcnt lgkmcnt(0)
	v_cmp_gt_i32_e32 vcc, 1, v0
	s_cbranch_vccnz .LBB1_13
; %bb.6:
	s_mov_b32 s59, 0
	s_mov_b64 s[60:61], src_shared_base
	v_mov_b32_e32 v41, 6
	s_branch .LBB1_8
.LBB1_7:                                ;   in Loop: Header=BB1_8 Depth=1
	s_or_b64 exec, exec, s[62:63]
	s_trap 2
	ds_read_b32 v0, v0
	s_add_i32 s59, s59, 1
	s_waitcnt lgkmcnt(0)
	v_cmp_lt_i32_e32 vcc, s59, v0
	s_cbranch_vccz .LBB1_13
.LBB1_8:                                ; =>This Inner Loop Header: Depth=1
	s_trap 2
	ds_read_b32 v0, v0
	s_cmp_eq_u32 s59, 0
	s_cbranch_scc1 .LBB1_11
; %bb.9:                                ;   in Loop: Header=BB1_8 Depth=1
	s_trap 2
	s_waitcnt lgkmcnt(0)
	ds_read_b32 v1, v0
	s_waitcnt lgkmcnt(0)
	v_xor_b32_e32 v1, v1, v0
	v_and_b32_e32 v1, 0xff0000, v1
	v_cmp_eq_u32_e32 vcc, 0, v1
	s_cbranch_vccnz .LBB1_11
; %bb.10:                               ;   in Loop: Header=BB1_8 Depth=1
	s_barrier
	ds_read_b32 v0, v0
.LBB1_11:                               ;   in Loop: Header=BB1_8 Depth=1
	s_waitcnt lgkmcnt(0)
	v_lshlrev_b32_sdwa v1, v41, v0 dst_sel:DWORD dst_unused:UNUSED_PAD src0_sel:DWORD src1_sel:BYTE_2
	v_cmp_lt_u32_e32 vcc, v40, v1
	s_and_saveexec_b64 s[62:63], vcc
	s_cbranch_execz .LBB1_7
; %bb.12:                               ;   in Loop: Header=BB1_8 Depth=1
	s_mov_b64 s[8:9], s[56:57]
	s_mov_b32 s12, s58
	v_mov_b32_e32 v0, v40
	v_mov_b32_e32 v3, s61
	s_getpc_b64 s[4:5]
	s_add_u32 s4, s4, _ZN12_GLOBAL__N_17runRingIm14FuncSumPostDivImE7ProtoLLLi0ELi1ELi0EEEviiP15ncclDevWorkColl@rel32@lo+4
	s_addc_u32 s5, s5, _ZN12_GLOBAL__N_17runRingIm14FuncSumPostDivImE7ProtoLLLi0ELi1ELi0EEEviiP15ncclDevWorkColl@rel32@hi+12
	s_swappc_b64 s[30:31], s[4:5]
	s_branch .LBB1_7
.LBB1_13:
	buffer_load_dword v63, off, s[0:3], s33 ; 4-byte Folded Reload
	buffer_load_dword v41, off, s[0:3], s33 offset:4 ; 4-byte Folded Reload
	buffer_load_dword v40, off, s[0:3], s33 offset:8 ; 4-byte Folded Reload
	v_readlane_b32 s30, v42, 30
	v_readlane_b32 s31, v42, 31
	;; [unrolled: 1-line block ×33, first 2 shown]
	s_or_saveexec_b64 s[6:7], -1
	buffer_load_dword v42, off, s[0:3], s33 offset:12 ; 4-byte Folded Reload
	s_mov_b64 exec, s[6:7]
	s_addk_i32 s32, 0xf800
	s_mov_b32 s33, s4
	s_waitcnt vmcnt(0)
	s_setpc_b64 s[30:31]
.Lfunc_end1:
	.size	_Z54ncclDevFunc_ReduceScatter_RING_LL_SumPostDiv_u64_0_0_1v, .Lfunc_end1-_Z54ncclDevFunc_ReduceScatter_RING_LL_SumPostDiv_u64_0_0_1v
                                        ; -- End function
	.section	.AMDGPU.csdata,"",@progbits
; Function info:
; codeLenInByte = 1080
; NumSgprs: 68
; NumVgprs: 64
; NumAgprs: 44
; TotalNumVgprs: 108
; ScratchSize: 144
; MemoryBound: 0
	.text
	.p2align	2                               ; -- Begin function _ZN12_GLOBAL__N_17runRingIm14FuncSumPostDivImE7ProtoLLLi0ELi2ELi0EEEviiP15ncclDevWorkColl
	.type	_ZN12_GLOBAL__N_17runRingIm14FuncSumPostDivImE7ProtoLLLi0ELi2ELi0EEEviiP15ncclDevWorkColl,@function
_ZN12_GLOBAL__N_17runRingIm14FuncSumPostDivImE7ProtoLLLi0ELi2ELi0EEEviiP15ncclDevWorkColl: ; @_ZN12_GLOBAL__N_17runRingIm14FuncSumPostDivImE7ProtoLLLi0ELi2ELi0EEEviiP15ncclDevWorkColl
; %bb.0:
	s_waitcnt vmcnt(0) expcnt(0) lgkmcnt(0)
	s_or_saveexec_b64 s[4:5], -1
	buffer_store_dword v63, off, s[0:3], s32 offset:104 ; 4-byte Folded Spill
	s_mov_b64 exec, s[4:5]
	buffer_store_dword v40, off, s[0:3], s32 offset:100 ; 4-byte Folded Spill
	buffer_store_dword v41, off, s[0:3], s32 offset:96 ; 4-byte Folded Spill
	;; [unrolled: 1-line block ×25, first 2 shown]
	buffer_store_dword a43, off, s[0:3], s32 ; 4-byte Folded Spill
	v_writelane_b32 v63, s34, 0
	v_writelane_b32 v63, s35, 1
	;; [unrolled: 1-line block ×24, first 2 shown]
	s_trap 2
	flat_load_dword v5, v[2:3]
	flat_load_dwordx4 v[24:27], v[2:3] offset:72
	flat_load_dwordx2 v[8:9], v[2:3] offset:88
	v_mov_b32_e32 v22, v0
	ds_read_b32 v0, v0
	v_mov_b32_e32 v20, v1
                                        ; implicit-def: $vgpr10_vgpr11
                                        ; implicit-def: $agpr4_agpr5
	s_waitcnt lgkmcnt(0)
	ds_read_b64 v[36:37], v0
	v_readfirstlane_b32 s22, v0
	s_waitcnt vmcnt(0)
	v_not_b32_sdwa v1, v5 dst_sel:DWORD dst_unused:UNUSED_PAD src0_sel:BYTE_0
	v_add_u32_sdwa v4, v5, v1 dst_sel:DWORD dst_unused:UNUSED_PAD src0_sel:BYTE_1 src1_sel:DWORD
	v_ashrrev_i32_e32 v6, 31, v4
	v_mul_lo_u32 v7, v27, v4
	v_mad_u64_u32 v[18:19], s[4:5], v26, v4, 0
	v_mul_lo_u32 v4, v26, v6
	v_add3_u32 v4, v19, v4, v7
	v_cmp_ne_u32_sdwa s[4:5], v5, v0 src0_sel:BYTE_0 src1_sel:DWORD
	s_and_saveexec_b64 s[6:7], s[4:5]
	s_xor_b64 s[4:5], exec, s[6:7]
	s_cbranch_execz .LBB2_6
; %bb.1:
	v_cmp_ne_u32_sdwa s[6:7], v5, v0 src0_sel:BYTE_1 src1_sel:DWORD
                                        ; implicit-def: $vgpr10_vgpr11
                                        ; implicit-def: $agpr4_agpr5
	s_and_saveexec_b64 s[10:11], s[6:7]
	s_xor_b64 s[6:7], exec, s[10:11]
	s_cbranch_execz .LBB2_3
; %bb.2:
	flat_load_dwordx2 v[6:7], v[2:3] offset:96
	v_add_u32_e32 v0, v0, v1
	v_ashrrev_i32_e32 v1, 31, v0
	v_mul_lo_u32 v1, v26, v1
	v_mul_lo_u32 v5, v27, v0
	v_mad_u64_u32 v[10:11], s[10:11], v26, v0, v[24:25]
	v_add3_u32 v11, v5, v11, v1
	v_accvgpr_write_b32 a4, v10
	v_accvgpr_write_b32 a5, v11
	s_waitcnt vmcnt(0) lgkmcnt(0)
	v_lshrrev_b64 v[10:11], 20, v[6:7]
.LBB2_3:
	s_andn2_saveexec_b64 s[6:7], s[6:7]
	s_cbranch_execz .LBB2_5
; %bb.4:
	flat_load_dword v0, v[2:3] offset:100
	v_add_co_u32_e32 v6, vcc, v18, v24
	v_addc_co_u32_e32 v7, vcc, v4, v25, vcc
	v_accvgpr_write_b32 a4, v6
	v_accvgpr_write_b32 a5, v7
	v_pk_mov_b32 v[26:27], v[8:9], v[8:9] op_sel:[0,1]
	s_waitcnt vmcnt(0) lgkmcnt(0)
	v_lshrrev_b32_e32 v10, 9, v0
.LBB2_5:
	s_or_b64 exec, exec, s[6:7]
.LBB2_6:
	s_andn2_saveexec_b64 s[4:5], s[4:5]
	s_cbranch_execz .LBB2_8
; %bb.7:
	flat_load_dwordx2 v[0:1], v[2:3] offset:96
	v_pk_mov_b32 v[6:7], 0, 0
	v_accvgpr_write_b32 a4, v6
	v_accvgpr_write_b32 a5, v7
	v_pk_mov_b32 v[26:27], v[24:25], v[24:25] op_sel:[0,1]
	s_waitcnt vmcnt(0) lgkmcnt(0)
	v_lshlrev_b64 v[10:11], 1, v[0:1]
.LBB2_8:
	s_or_b64 exec, exec, s[4:5]
	flat_load_dword v0, v[2:3] offset:104
	flat_load_dwordx4 a[6:9], v[2:3] offset:16
	flat_load_ushort v13, v[2:3] offset:8
	flat_load_dword v12, v[2:3] offset:4
	v_mov_b32_e32 v61, 0
	s_mov_b32 s6, 0
	v_pk_mov_b32 v[28:29], -1, -1
	s_waitcnt vmcnt(0) lgkmcnt(0)
	v_alignbit_b32 v5, v0, v0, 1
	v_and_b32_e32 v60, 0x7fffffff, v5
	v_cmp_ne_u32_e32 vcc, 0, v60
	s_and_saveexec_b64 s[4:5], vcc
	s_cbranch_execz .LBB2_10
; %bb.9:
	v_cmp_eq_u32_e32 vcc, 1, v60
	v_cndmask_b32_e64 v0, 0, 1, vcc
	v_lshlrev_b32_e32 v2, 31, v0
	v_cndmask_b32_e64 v0, 3, 1, vcc
	v_mov_b32_e32 v1, v61
	v_cmp_ge_u64_e32 vcc, v[0:1], v[60:61]
	v_cndmask_b32_e64 v3, 0, 1, vcc
	v_cmp_lt_u64_e32 vcc, v[0:1], v[60:61]
	v_cndmask_b32_e64 v1, v60, 0, vcc
	v_sub_co_u32_e32 v0, vcc, v0, v1
	v_subb_co_u32_e64 v1, s[10:11], 0, 0, vcc
	v_lshlrev_b64 v[0:1], 1, v[0:1]
	v_or_b32_e32 v0, 1, v0
	v_lshlrev_b32_e32 v3, 30, v3
	v_cmp_ge_u64_e32 vcc, v[0:1], v[60:61]
	v_or_b32_e32 v2, v3, v2
	v_cndmask_b32_e64 v3, 0, 1, vcc
	v_cmp_lt_u64_e32 vcc, v[0:1], v[60:61]
	v_cndmask_b32_e64 v6, v60, 0, vcc
	v_sub_co_u32_e32 v0, vcc, v0, v6
	v_subbrev_co_u32_e32 v1, vcc, 0, v1, vcc
	v_lshlrev_b64 v[0:1], 1, v[0:1]
	v_or_b32_e32 v0, 1, v0
	v_cmp_ge_u64_e32 vcc, v[0:1], v[60:61]
	v_cndmask_b32_e64 v6, 0, 1, vcc
	v_lshlrev_b32_e32 v3, 29, v3
	v_lshlrev_b32_e32 v6, 28, v6
	v_cmp_lt_u64_e32 vcc, v[0:1], v[60:61]
	v_or3_b32 v2, v2, v3, v6
	v_cndmask_b32_e64 v3, v60, 0, vcc
	v_sub_co_u32_e32 v0, vcc, v0, v3
	v_subbrev_co_u32_e32 v1, vcc, 0, v1, vcc
	v_lshlrev_b64 v[0:1], 1, v[0:1]
	v_or_b32_e32 v0, 1, v0
	v_cmp_ge_u64_e32 vcc, v[0:1], v[60:61]
	v_cndmask_b32_e64 v3, 0, 1, vcc
	v_cmp_lt_u64_e32 vcc, v[0:1], v[60:61]
	v_cndmask_b32_e64 v6, v60, 0, vcc
	v_sub_co_u32_e32 v0, vcc, v0, v6
	v_subbrev_co_u32_e32 v1, vcc, 0, v1, vcc
	v_lshlrev_b64 v[0:1], 1, v[0:1]
	v_or_b32_e32 v0, 1, v0
	v_cmp_ge_u64_e32 vcc, v[0:1], v[60:61]
	v_cndmask_b32_e64 v6, 0, 1, vcc
	v_lshlrev_b32_e32 v3, 27, v3
	v_lshlrev_b32_e32 v6, 26, v6
	v_cmp_lt_u64_e32 vcc, v[0:1], v[60:61]
	v_or3_b32 v2, v2, v3, v6
	v_cndmask_b32_e64 v3, v60, 0, vcc
	v_sub_co_u32_e32 v0, vcc, v0, v3
	v_subbrev_co_u32_e32 v1, vcc, 0, v1, vcc
	v_lshlrev_b64 v[0:1], 1, v[0:1]
	v_or_b32_e32 v0, 1, v0
	v_cmp_ge_u64_e32 vcc, v[0:1], v[60:61]
	;; [unrolled: 19-line block ×14, first 2 shown]
	v_cndmask_b32_e64 v3, 0, 1, vcc
	v_cmp_lt_u64_e32 vcc, v[0:1], v[60:61]
	v_cndmask_b32_e64 v6, v60, 0, vcc
	v_sub_co_u32_e32 v0, vcc, v0, v6
	v_subbrev_co_u32_e32 v1, vcc, 0, v1, vcc
	v_lshlrev_b64 v[0:1], 1, v[0:1]
	v_or_b32_e32 v0, 1, v0
	v_cmp_ge_u64_e32 vcc, v[0:1], v[60:61]
	v_lshlrev_b32_e32 v3, 1, v3
	v_cndmask_b32_e64 v6, 0, 1, vcc
	v_cmp_lt_u64_e32 vcc, v[0:1], v[60:61]
	v_or3_b32 v29, v2, v3, v6
	v_cndmask_b32_e64 v2, v60, 0, vcc
	v_sub_co_u32_e32 v0, vcc, v0, v2
	v_subbrev_co_u32_e32 v1, vcc, 0, v1, vcc
	v_lshlrev_b64 v[0:1], 1, v[0:1]
	v_or_b32_e32 v0, 1, v0
	v_cmp_ge_u64_e32 vcc, v[0:1], v[60:61]
	v_cndmask_b32_e64 v2, 0, 1, vcc
	v_cmp_lt_u64_e32 vcc, v[0:1], v[60:61]
	v_cndmask_b32_e64 v3, v60, 0, vcc
	v_sub_co_u32_e32 v0, vcc, v0, v3
	v_subbrev_co_u32_e32 v1, vcc, 0, v1, vcc
	v_lshlrev_b64 v[0:1], 1, v[0:1]
	v_or_b32_e32 v0, 1, v0
	v_cmp_ge_u64_e32 vcc, v[0:1], v[60:61]
	v_cndmask_b32_e64 v3, 0, 1, vcc
	v_cmp_lt_u64_e32 vcc, v[0:1], v[60:61]
	v_cndmask_b32_e64 v6, v60, 0, vcc
	v_sub_co_u32_e32 v0, vcc, v0, v6
	v_subbrev_co_u32_e32 v1, vcc, 0, v1, vcc
	v_lshlrev_b64 v[0:1], 1, v[0:1]
	v_or_b32_e32 v0, 1, v0
	v_cmp_ge_u64_e32 vcc, v[0:1], v[60:61]
	v_cndmask_b32_e64 v6, 0, 1, vcc
	v_lshlrev_b32_e32 v2, 31, v2
	v_lshlrev_b32_e32 v3, 30, v3
	;; [unrolled: 1-line block ×3, first 2 shown]
	v_cmp_lt_u64_e32 vcc, v[0:1], v[60:61]
	v_or3_b32 v2, v2, v3, v6
	v_cndmask_b32_e64 v3, v60, 0, vcc
	v_sub_co_u32_e32 v0, vcc, v0, v3
	v_subbrev_co_u32_e32 v1, vcc, 0, v1, vcc
	v_lshlrev_b64 v[0:1], 1, v[0:1]
	v_or_b32_e32 v0, 1, v0
	v_cmp_ge_u64_e32 vcc, v[0:1], v[60:61]
	v_cndmask_b32_e64 v3, 0, 1, vcc
	v_cmp_lt_u64_e32 vcc, v[0:1], v[60:61]
	v_cndmask_b32_e64 v6, v60, 0, vcc
	v_sub_co_u32_e32 v0, vcc, v0, v6
	v_subbrev_co_u32_e32 v1, vcc, 0, v1, vcc
	v_lshlrev_b64 v[0:1], 1, v[0:1]
	v_or_b32_e32 v0, 1, v0
	v_cmp_ge_u64_e32 vcc, v[0:1], v[60:61]
	v_cndmask_b32_e64 v6, 0, 1, vcc
	v_lshlrev_b32_e32 v3, 28, v3
	v_lshlrev_b32_e32 v6, 27, v6
	v_cmp_lt_u64_e32 vcc, v[0:1], v[60:61]
	v_or3_b32 v2, v2, v3, v6
	v_cndmask_b32_e64 v3, v60, 0, vcc
	v_sub_co_u32_e32 v0, vcc, v0, v3
	v_subbrev_co_u32_e32 v1, vcc, 0, v1, vcc
	v_lshlrev_b64 v[0:1], 1, v[0:1]
	v_or_b32_e32 v0, 1, v0
	v_cmp_ge_u64_e32 vcc, v[0:1], v[60:61]
	v_cndmask_b32_e64 v3, 0, 1, vcc
	v_cmp_lt_u64_e32 vcc, v[0:1], v[60:61]
	v_cndmask_b32_e64 v6, v60, 0, vcc
	v_sub_co_u32_e32 v0, vcc, v0, v6
	v_subbrev_co_u32_e32 v1, vcc, 0, v1, vcc
	v_lshlrev_b64 v[0:1], 1, v[0:1]
	v_or_b32_e32 v0, 1, v0
	v_cmp_ge_u64_e32 vcc, v[0:1], v[60:61]
	v_cndmask_b32_e64 v6, 0, 1, vcc
	v_lshlrev_b32_e32 v3, 26, v3
	v_lshlrev_b32_e32 v6, 25, v6
	;; [unrolled: 19-line block ×14, first 2 shown]
	v_cmp_lt_u64_e32 vcc, v[0:1], v[60:61]
	v_or3_b32 v2, v2, v3, v6
	v_cndmask_b32_e64 v3, v60, 0, vcc
	v_sub_co_u32_e32 v0, vcc, v0, v3
	v_subbrev_co_u32_e32 v1, vcc, 0, v1, vcc
	v_lshlrev_b64 v[0:1], 1, v[0:1]
	v_or_b32_e32 v0, 1, v0
	v_cmp_ge_u64_e32 vcc, v[0:1], v[60:61]
	v_cndmask_b32_e64 v0, 0, 1, vcc
	v_or_b32_e32 v28, v2, v0
.LBB2_10:
	s_or_b64 exec, exec, s[4:5]
	s_load_dword s4, s[8:9], 0x0
	v_lshrrev_b64 v[2:3], 31, v[12:13]
	v_and_b32_e32 v6, 63, v22
	v_and_b32_e32 v7, 3, v2
	v_pk_mov_b32 v[32:33], 0, 0
	s_waitcnt lgkmcnt(0)
	s_cmp_lt_u32 s12, s4
	s_cselect_b32 s4, 12, 18
	s_add_u32 s4, s8, s4
	s_addc_u32 s5, s9, 0
	global_load_ushort v59, v61, s[4:5]
	s_trap 2
	ds_read_b32 v0, v0
	v_cmp_eq_u32_e64 s[4:5], 0, v6
	s_waitcnt lgkmcnt(0)
	v_cmp_gt_i32_e32 vcc, 0, v0
	s_cbranch_vccnz .LBB2_12
; %bb.11:
	s_trap 2
	ds_read_b64 v[2:3], v0
	v_mov_b32_e32 v1, 0
	v_lshlrev_b64 v[12:13], 3, v[0:1]
	v_and_b32_e32 v1, 0xffff, v7
	s_movk_i32 s6, 0xa8
	s_waitcnt lgkmcnt(0)
	v_add_co_u32_e32 v2, vcc, v2, v12
	v_addc_co_u32_e32 v3, vcc, v3, v13, vcc
	flat_load_dwordx2 v[2:3], v[2:3]
	s_waitcnt vmcnt(0) lgkmcnt(0)
	v_mad_u64_u32 v[2:3], s[6:7], v1, s6, v[2:3]
	flat_load_dwordx2 a[14:15], v[2:3] offset:504
	flat_load_dwordx2 v[38:39], v[2:3] offset:608
	v_add_co_u32_e32 v1, vcc, 0x1f8, v2
	v_addc_co_u32_e32 v2, vcc, 0, v3, vcc
	v_cndmask_b32_e64 v35, 0, v2, s[4:5]
	v_cndmask_b32_e64 v34, 0, v1, s[4:5]
	s_mov_b32 s6, 1
	s_branch .LBB2_13
.LBB2_12:
	v_pk_mov_b32 v[34:35], v[32:33], v[32:33] op_sel:[0,1]
                                        ; implicit-def: $vgpr38_vgpr39
                                        ; implicit-def: $agpr14_agpr15
.LBB2_13:
	s_trap 2
	ds_read_b32 v2, v0
	s_waitcnt lgkmcnt(0)
	v_cmp_gt_i32_e32 vcc, 0, v2
	s_cbranch_vccnz .LBB2_15
; %bb.14:
	s_trap 2
	ds_read_b64 v[12:13], v0
	v_mov_b32_e32 v3, 0
	v_lshlrev_b64 v[2:3], 3, v[2:3]
	v_and_b32_e32 v1, 0xffff, v7
	s_movk_i32 s4, 0xa8
	s_waitcnt lgkmcnt(0)
	v_add_co_u32_e32 v2, vcc, v12, v2
	v_addc_co_u32_e32 v3, vcc, v13, v3, vcc
	flat_load_dwordx2 v[2:3], v[2:3]
	v_cmp_eq_u32_e32 vcc, 0, v6
	s_waitcnt vmcnt(0) lgkmcnt(0)
	v_mad_u64_u32 v[2:3], s[4:5], v1, s4, v[2:3]
	flat_load_dwordx2 v[48:49], v[2:3]
	flat_load_dwordx2 v[16:17], v[2:3] offset:104
	v_cndmask_b32_e32 v33, 0, v3, vcc
	v_cndmask_b32_e32 v32, 0, v2, vcc
	s_branch .LBB2_16
.LBB2_15:
                                        ; implicit-def: $vgpr16_vgpr17
                                        ; implicit-def: $vgpr48_vgpr49
.LBB2_16:
	v_subrev_u32_e32 v1, 64, v20
	v_pk_mov_b32 v[12:13], 0, 0
	v_cmp_le_i32_e32 vcc, v1, v22
	v_cmp_gt_u32_e64 s[4:5], s6, v6
	v_accvgpr_write_b32 a17, v13
	s_and_b64 s[24:25], vcc, s[4:5]
	v_accvgpr_write_b32 a16, v12
                                        ; implicit-def: $vgpr50_vgpr51
	s_and_saveexec_b64 s[4:5], s[24:25]
	s_cbranch_execz .LBB2_18
; %bb.17:
	flat_load_dwordx2 a[16:17], v[34:35] offset:56
	flat_load_dwordx2 v[50:51], v[34:35] offset:104
.LBB2_18:
	s_or_b64 exec, exec, s[4:5]
	v_cmp_gt_i32_e64 s[4:5], s6, v22
	v_pk_mov_b32 v[54:55], v[12:13], v[12:13] op_sel:[0,1]
                                        ; implicit-def: $vgpr40_vgpr41
	s_and_saveexec_b64 s[6:7], s[4:5]
	s_cbranch_execz .LBB2_20
; %bb.19:
	flat_load_dwordx2 v[54:55], v[32:33] offset:56
	s_waitcnt vmcnt(0) lgkmcnt(0)
	flat_load_dwordx2 v[40:41], v[54:55] glc
	s_waitcnt vmcnt(0)
	flat_load_dwordx4 v[12:15], v[32:33] offset:96
.LBB2_20:
	s_or_b64 exec, exec, s[6:7]
	v_cmp_ne_u64_e32 vcc, 0, v[26:27]
	v_pk_mov_b32 v[42:43], 0, 0
	s_and_saveexec_b64 s[26:27], vcc
	s_cbranch_execz .LBB2_186
; %bb.21:
	v_ashrrev_i32_e32 v1, 31, v0
	v_lshrrev_b32_e32 v1, 29, v1
	v_add_u32_e32 v0, v0, v1
	v_ashrrev_i32_e32 v62, 7, v0
	v_add_co_u32_e32 v0, vcc, v8, v24
	v_addc_co_u32_e32 v1, vcc, v9, v25, vcc
	v_add_co_u32_e32 v56, vcc, v0, v18
	s_ashr_i32 s23, s22, 31
	v_addc_co_u32_e32 v57, vcc, v1, v4, vcc
	s_lshl_b64 s[6:7], s[22:23], 2
	v_mov_b32_e32 v0, s7
	v_add_co_u32_e32 v1, vcc, s6, v36
	v_addc_co_u32_e32 v0, vcc, v37, v0, vcc
	v_add_co_u32_e32 v2, vcc, -4, v1
	v_addc_co_u32_e32 v3, vcc, -1, v0, vcc
	v_and_b32_e32 v0, 63, v31
	v_ashrrev_i32_e32 v21, 31, v20
	v_cmp_eq_u32_e64 s[12:13], 0, v0
	v_lshrrev_b32_e32 v0, 26, v21
	v_add_u32_e32 v0, v20, v0
	v_ashrrev_i32_e32 v0, 6, v0
	v_accvgpr_write_b32 a21, v3
	v_ashrrev_i32_e32 v1, 31, v0
	v_accvgpr_write_b32 a20, v2
	v_accvgpr_write_b32 a22, v0
	;; [unrolled: 1-line block ×3, first 2 shown]
	v_ashrrev_i32_e32 v23, 31, v22
	v_accvgpr_read_b32 v0, a6
	v_lshlrev_b64 v[18:19], 3, v[22:23]
	v_accvgpr_read_b32 v2, a8
	v_accvgpr_read_b32 v3, a9
	v_add_co_u32_e32 v4, vcc, v2, v18
	v_accvgpr_write_b32 a26, v4
	v_addc_co_u32_e32 v4, vcc, v3, v19, vcc
	v_accvgpr_read_b32 v1, a7
	v_accvgpr_write_b32 a27, v4
	v_add_co_u32_e32 v4, vcc, v0, v18
	v_addc_co_u32_e32 v1, vcc, v1, v19, vcc
	v_accvgpr_write_b32 a29, v1
	v_and_b32_e32 v46, 7, v0
	v_accvgpr_read_b32 v0, a4
	v_mov_b32_e32 v47, 0
	v_accvgpr_read_b32 v1, a5
	v_cmp_eq_u64_e32 vcc, 0, v[46:47]
	v_lshlrev_b64 v[0:1], 3, v[0:1]
	v_cndmask_b32_e64 v53, 0, 1, vcc
	v_add_co_u32_e32 v0, vcc, v0, v18
	v_addc_co_u32_e32 v1, vcc, v1, v19, vcc
	v_add_co_u32_e32 v0, vcc, v2, v0
	v_addc_co_u32_e32 v1, vcc, v3, v1, vcc
	v_accvgpr_write_b32 a33, v1
	v_accvgpr_write_b32 a32, v0
	v_lshlrev_b32_e32 v0, 3, v10
	v_and_b32_e32 v0, 0x1fffff0, v0
	v_accvgpr_write_b32 a34, v0
	v_lshlrev_b64 v[0:1], 4, v[22:23]
	s_waitcnt vmcnt(0) lgkmcnt(0)
	v_add_co_u32_e32 v0, vcc, v48, v0
	v_accvgpr_write_b32 a10, v32
	v_accvgpr_write_b32 a31, v0
	v_addc_co_u32_e32 v0, vcc, v49, v1, vcc
	v_accvgpr_write_b32 a11, v33
	v_and_b32_e32 v32, 0x3ffffe, v10
	v_accvgpr_read_b32 v6, a16
	v_accvgpr_write_b32 a35, v0
	v_lshlrev_b64 v[0:1], 3, v[56:57]
	v_accvgpr_write_b32 a12, v34
	v_mov_b32_e32 v33, v47
	s_cmp_gt_i32 s22, 2
	v_accvgpr_read_b32 v7, a17
	v_accvgpr_write_b32 a25, v19
	v_accvgpr_write_b32 a37, v1
	v_pk_mov_b32 v[44:45], 0, 0
	v_accvgpr_write_b32 a18, v32
	v_accvgpr_write_b32 a13, v35
	s_mov_b64 s[28:29], 0
	v_cmp_ne_u64_e64 s[6:7], 0, v[54:55]
	v_cmp_ne_u64_e64 s[8:9], 0, v[12:13]
	v_cmp_ne_u32_e64 s[10:11], 64, v20
	v_cmp_ne_u32_sdwa s[30:31], v59, v20 src0_sel:WORD_0 src1_sel:DWORD
	s_cselect_b64 s[34:35], -1, 0
	v_cmp_ne_u64_e64 s[14:15], 0, v[6:7]
	v_accvgpr_write_b32 a28, v4
	v_cmp_gt_i32_e64 s[16:17], 0, v5
	v_mov_b32_e32 v8, v29
	v_accvgpr_write_b32 a24, v18
	s_movk_i32 s23, 0x2710
	s_mov_b64 s[36:37], 0x7ffffff8
	v_mov_b32_e32 v58, 0
	v_accvgpr_write_b32 a36, v0
	v_lshlrev_b64 v[34:35], 3, v[20:21]
	v_lshlrev_b64 v[10:11], 4, v[20:21]
	v_pk_mov_b32 v[42:43], v[44:45], v[44:45] op_sel:[0,1]
	v_mov_b32_e32 v30, v22
	v_accvgpr_write_b32 a19, v33
	s_branch .LBB2_23
.LBB2_22:                               ;   in Loop: Header=BB2_23 Depth=1
	s_or_b64 exec, exec, s[18:19]
	v_add_co_u32_e32 v38, vcc, 1, v38
	v_addc_co_u32_e32 v39, vcc, 0, v39, vcc
	v_add_co_u32_e32 v44, vcc, v44, v32
	v_accvgpr_read_b32 v27, a3
	v_addc_co_u32_e32 v45, vcc, 0, v45, vcc
	v_accvgpr_read_b32 v26, a2
	v_cmp_ge_u64_e32 vcc, v[44:45], v[26:27]
	v_accvgpr_read_b32 v0, a32
	s_waitcnt vmcnt(0) lgkmcnt(0)
	v_accvgpr_read_b32 v2, a34
	s_or_b64 s[28:29], vcc, s[28:29]
	v_accvgpr_read_b32 v1, a33
	v_add_co_u32_e32 v0, vcc, v0, v2
	v_addc_co_u32_e32 v1, vcc, 0, v1, vcc
	v_accvgpr_write_b32 a33, v1
	v_accvgpr_write_b32 a32, v0
	s_andn2_b64 exec, exec, s[28:29]
	s_cbranch_execz .LBB2_185
.LBB2_23:                               ; =>This Loop Header: Depth=1
                                        ;     Child Loop BB2_30 Depth 2
                                        ;     Child Loop BB2_47 Depth 2
	;; [unrolled: 1-line block ×5, first 2 shown]
                                        ;       Child Loop BB2_83 Depth 3
                                        ;       Child Loop BB2_99 Depth 3
	;; [unrolled: 1-line block ×3, first 2 shown]
                                        ;         Child Loop BB2_118 Depth 4
                                        ;       Child Loop BB2_132 Depth 3
                                        ;       Child Loop BB2_76 Depth 3
                                        ;     Child Loop BB2_147 Depth 2
                                        ;       Child Loop BB2_151 Depth 3
                                        ;     Child Loop BB2_173 Depth 2
	v_accvgpr_read_b32 v0, a20
	v_accvgpr_read_b32 v1, a21
	flat_load_dword v2, v[0:1]
	v_sub_co_u32_e32 v0, vcc, v26, v44
	v_subb_co_u32_e32 v1, vcc, v27, v45, vcc
	v_cmp_lt_u64_e32 vcc, v[32:33], v[0:1]
	v_accvgpr_write_b32 a2, v26
	v_cndmask_b32_e32 v0, v0, v32, vcc
	v_accvgpr_write_b32 a3, v27
	v_accvgpr_write_b32 a40, v0
	s_and_saveexec_b64 s[18:19], s[6:7]
	s_cbranch_execz .LBB2_39
; %bb.24:                               ;   in Loop: Header=BB2_23 Depth=1
	v_add_co_u32_e32 v0, vcc, 1, v14
	v_addc_co_u32_e32 v1, vcc, 0, v15, vcc
	v_add_co_u32_e32 v4, vcc, 8, v40
	v_addc_co_u32_e32 v5, vcc, 0, v41, vcc
	v_cmp_lt_u64_e32 vcc, v[4:5], v[0:1]
	s_and_saveexec_b64 s[20:21], vcc
	s_cbranch_execz .LBB2_36
; %bb.25:                               ;   in Loop: Header=BB2_23 Depth=1
	s_sleep 1
	flat_load_dwordx2 v[40:41], v[54:55] glc
	v_cmp_eq_u32_e32 vcc, 0, v58
	s_and_saveexec_b64 s[38:39], vcc
	s_cbranch_execz .LBB2_35
; %bb.26:                               ;   in Loop: Header=BB2_23 Depth=1
	v_cndmask_b32_e64 v3, 0, 1, vcc
	s_mov_b64 s[40:41], 0
                                        ; implicit-def: $sgpr42_sgpr43
	s_branch .LBB2_30
.LBB2_27:                               ;   in Loop: Header=BB2_30 Depth=2
	s_or_b64 exec, exec, s[50:51]
	s_orn2_b64 s[48:49], s[48:49], exec
.LBB2_28:                               ;   in Loop: Header=BB2_30 Depth=2
	s_or_b64 exec, exec, s[46:47]
	s_xor_b64 vcc, s[48:49], -1
	s_andn2_b64 s[42:43], s[42:43], exec
	s_and_b64 vcc, vcc, exec
	s_or_b64 s[42:43], s[42:43], vcc
.LBB2_29:                               ;   in Loop: Header=BB2_30 Depth=2
	s_or_b64 exec, exec, s[44:45]
	s_and_b64 vcc, exec, s[42:43]
	s_or_b64 s[40:41], vcc, s[40:41]
	s_andn2_b64 exec, exec, s[40:41]
	s_cbranch_execz .LBB2_34
.LBB2_30:                               ;   Parent Loop BB2_23 Depth=1
                                        ; =>  This Inner Loop Header: Depth=2
	s_waitcnt vmcnt(0) lgkmcnt(0)
	v_add_co_u32_e32 v4, vcc, 8, v40
	v_addc_co_u32_e32 v5, vcc, 0, v41, vcc
	v_cmp_lt_u64_e32 vcc, v[4:5], v[0:1]
	v_mov_b32_e32 v58, 0
	s_or_b64 s[42:43], s[42:43], exec
	s_and_saveexec_b64 s[44:45], vcc
	s_cbranch_execz .LBB2_29
; %bb.31:                               ;   in Loop: Header=BB2_30 Depth=2
	s_sleep 1
	flat_load_dwordx2 v[40:41], v[54:55] glc
	v_add_u32_e32 v3, 1, v3
	v_cmp_eq_u32_e32 vcc, s23, v3
	s_mov_b64 s[48:49], -1
	v_mov_b32_e32 v58, 0
	s_and_saveexec_b64 s[46:47], vcc
	s_cbranch_execz .LBB2_28
; %bb.32:                               ;   in Loop: Header=BB2_30 Depth=2
	s_trap 2
	ds_read_b64 v[4:5], v0
	v_mov_b32_e32 v3, 0
	v_mov_b32_e32 v58, 0
	s_waitcnt vmcnt(0) lgkmcnt(0)
	flat_load_dword v4, v[4:5] glc
	s_waitcnt vmcnt(0) lgkmcnt(0)
	buffer_invl2
	buffer_wbinvl1_vol
	v_cmp_ne_u32_e32 vcc, 0, v4
	s_and_saveexec_b64 s[50:51], vcc
	s_cbranch_execz .LBB2_27
; %bb.33:                               ;   in Loop: Header=BB2_30 Depth=2
	v_mov_b32_e32 v58, 1
	s_xor_b64 s[48:49], exec, -1
	ds_write_b32 v0, v4
	s_trap 2
	s_branch .LBB2_27
.LBB2_34:                               ;   in Loop: Header=BB2_23 Depth=1
	s_or_b64 exec, exec, s[40:41]
.LBB2_35:                               ;   in Loop: Header=BB2_23 Depth=1
	s_or_b64 exec, exec, s[38:39]
.LBB2_36:                               ;   in Loop: Header=BB2_23 Depth=1
	s_or_b64 exec, exec, s[20:21]
	s_and_saveexec_b64 s[20:21], s[8:9]
	s_cbranch_execz .LBB2_38
; %bb.37:                               ;   in Loop: Header=BB2_23 Depth=1
	v_and_b32_e32 v46, 0x7ffffff8, v14
	v_cmp_eq_u64_e32 vcc, s[36:37], v[46:47]
	v_accvgpr_read_b32 v3, a40
	v_cndmask_b32_e32 v3, v3, v62, vcc
	v_lshlrev_b32_e32 v4, 4, v3
	v_and_b32_e32 v3, 7, v14
	v_ashrrev_i32_e32 v5, 31, v4
	v_mad_u64_u32 v[6:7], vcc, v3, 24, v[12:13]
	flat_store_dwordx2 v[6:7], v[4:5] offset:8
	s_waitcnt vmcnt(0)
.LBB2_38:                               ;   in Loop: Header=BB2_23 Depth=1
	s_or_b64 exec, exec, s[20:21]
	v_pk_mov_b32 v[14:15], v[0:1], v[0:1] op_sel:[0,1]
.LBB2_39:                               ;   in Loop: Header=BB2_23 Depth=1
	s_or_b64 exec, exec, s[18:19]
	s_and_saveexec_b64 s[18:19], s[10:11]
	s_cbranch_execz .LBB2_58
; %bb.40:                               ;   in Loop: Header=BB2_23 Depth=1
	s_and_saveexec_b64 s[20:21], s[30:31]
	s_xor_b64 s[20:21], exec, s[20:21]
	s_cbranch_execz .LBB2_55
; %bb.41:                               ;   in Loop: Header=BB2_23 Depth=1
	s_and_saveexec_b64 s[38:39], s[12:13]
	s_cbranch_execz .LBB2_54
; %bb.42:                               ;   in Loop: Header=BB2_23 Depth=1
	s_mov_b64 s[42:43], exec
	v_mbcnt_lo_u32_b32 v0, s42, 0
	v_mbcnt_hi_u32_b32 v0, s43, v0
	v_cmp_eq_u32_e32 vcc, 0, v0
	s_waitcnt vmcnt(0) lgkmcnt(0)
	buffer_wbinvl1_vol
	s_and_saveexec_b64 s[40:41], vcc
	s_cbranch_execz .LBB2_44
; %bb.43:                               ;   in Loop: Header=BB2_23 Depth=1
	s_bcnt1_i32_b64 vcc_lo, s[42:43]
	v_mov_b32_e32 v46, vcc_lo
	ds_add_u64 v0, v[46:47]
	s_trap 2
.LBB2_44:                               ;   in Loop: Header=BB2_23 Depth=1
	s_or_b64 exec, exec, s[40:41]
	s_trap 2
	ds_read_b64 v[0:1], v0
	v_accvgpr_read_b32 v4, a22
	v_add_co_u32_e32 v42, vcc, v42, v4
	v_accvgpr_read_b32 v3, a23
	v_addc_co_u32_e32 v43, vcc, v43, v3, vcc
	s_waitcnt lgkmcnt(0)
	v_cmp_lt_u64_e32 vcc, v[0:1], v[42:43]
	s_and_saveexec_b64 s[40:41], vcc
	s_cbranch_execz .LBB2_53
; %bb.45:                               ;   in Loop: Header=BB2_23 Depth=1
	s_mov_b32 s52, 0
	s_mov_b64 s[42:43], 0
                                        ; implicit-def: $sgpr44_sgpr45
                                        ; implicit-def: $sgpr46_sgpr47
	s_branch .LBB2_47
.LBB2_46:                               ;   in Loop: Header=BB2_47 Depth=2
	s_or_b64 exec, exec, s[50:51]
	s_and_b64 vcc, exec, vcc
	s_or_b64 s[42:43], vcc, s[42:43]
	s_andn2_b64 vcc, s[44:45], exec
	s_and_b64 s[44:45], s[46:47], exec
	s_or_b64 s[44:45], vcc, s[44:45]
	s_andn2_b64 exec, exec, s[42:43]
	s_cbranch_execz .LBB2_51
.LBB2_47:                               ;   Parent Loop BB2_23 Depth=1
                                        ; =>  This Inner Loop Header: Depth=2
	s_add_i32 s52, s52, 1
	s_cmpk_lg_i32 s52, 0x2710
	s_cselect_b64 s[48:49], -1, 0
	s_and_b64 vcc, exec, s[48:49]
                                        ; implicit-def: $sgpr50_sgpr51
	s_cbranch_vccnz .LBB2_49
; %bb.48:                               ;   in Loop: Header=BB2_47 Depth=2
	s_trap 2
	ds_read_b64 v[0:1], v0
	s_andn2_b64 s[48:49], s[48:49], exec
	s_mov_b32 s52, 0
	s_mov_b64 s[50:51], -1
	s_waitcnt lgkmcnt(0)
	flat_load_dword v0, v[0:1] glc
	s_waitcnt vmcnt(0) lgkmcnt(0)
	buffer_invl2
	buffer_wbinvl1_vol
	v_cmp_eq_u32_e32 vcc, 0, v0
	s_and_b64 vcc, vcc, exec
	s_or_b64 s[48:49], s[48:49], vcc
.LBB2_49:                               ;   in Loop: Header=BB2_47 Depth=2
	s_andn2_b64 s[46:47], s[46:47], exec
	s_and_b64 s[50:51], s[50:51], exec
	s_mov_b64 vcc, -1
	s_or_b64 s[46:47], s[46:47], s[50:51]
	s_and_saveexec_b64 s[50:51], s[48:49]
	s_cbranch_execz .LBB2_46
; %bb.50:                               ;   in Loop: Header=BB2_47 Depth=2
	s_sleep 1
	s_trap 2
	ds_read_b64 v[0:1], v0
	s_andn2_b64 s[46:47], s[46:47], exec
	s_waitcnt lgkmcnt(0)
	v_cmp_ge_u64_e32 vcc, v[0:1], v[42:43]
	s_orn2_b64 vcc, vcc, exec
	s_branch .LBB2_46
.LBB2_51:                               ;   in Loop: Header=BB2_23 Depth=1
	s_or_b64 exec, exec, s[42:43]
	s_and_saveexec_b64 vcc, s[44:45]
	s_xor_b64 vcc, exec, vcc
	s_cbranch_execz .LBB2_53
; %bb.52:                               ;   in Loop: Header=BB2_23 Depth=1
	v_mov_b32_e32 v0, 1
	ds_write_b32 v0, v0
	s_trap 2
.LBB2_53:                               ;   in Loop: Header=BB2_23 Depth=1
	s_or_b64 exec, exec, s[40:41]
	;;#ASMSTART
	s_wakeup
	;;#ASMEND
.LBB2_54:                               ;   in Loop: Header=BB2_23 Depth=1
	s_or_b64 exec, exec, s[38:39]
.LBB2_55:                               ;   in Loop: Header=BB2_23 Depth=1
	s_andn2_saveexec_b64 s[20:21], s[20:21]
	s_cbranch_execz .LBB2_57
; %bb.56:                               ;   in Loop: Header=BB2_23 Depth=1
	s_waitcnt vmcnt(0) lgkmcnt(0)
	buffer_wbinvl1_vol
	s_barrier
.LBB2_57:                               ;   in Loop: Header=BB2_23 Depth=1
	s_or_b64 exec, exec, s[20:21]
.LBB2_58:                               ;   in Loop: Header=BB2_23 Depth=1
	s_or_b64 exec, exec, s[18:19]
	v_accvgpr_read_b32 v0, a40
	v_sub_u32_e32 v6, v0, v22
	v_cmp_lt_i32_e64 s[18:19], 0, v6
	v_and_b32_e32 v1, 7, v16
	v_mov_b32_e32 v0, v22
	s_and_saveexec_b64 s[20:21], s[18:19]
	s_cbranch_execz .LBB2_62
; %bb.59:                               ;   in Loop: Header=BB2_23 Depth=1
	v_accvgpr_read_b32 v18, a32
	v_accvgpr_read_b32 v24, a36
	s_waitcnt vmcnt(0) lgkmcnt(0)
	v_ashrrev_i32_e32 v0, 31, v2
	v_mul_lo_u32 v4, v1, v62
	v_mov_b32_e32 v3, v16
	v_add_co_u32_e64 v7, vcc, 0, 0
	v_accvgpr_read_b32 v19, a33
	v_accvgpr_read_b32 v25, a37
	v_ashrrev_i32_e32 v5, 31, v4
	v_addc_co_u32_e32 v3, vcc, 1, v3, vcc
	v_mad_u64_u32 v[18:19], vcc, v24, v2, v[18:19]
	v_mul_lo_u32 v2, v25, v2
	v_mul_lo_u32 v0, v24, v0
	v_add3_u32 v19, v2, v19, v0
	v_lshlrev_b64 v[4:5], 4, v[4:5]
	v_accvgpr_read_b32 v2, a31
	v_add_co_u32_e32 v24, vcc, v2, v4
	v_accvgpr_read_b32 v2, a35
	v_mov_b32_e32 v0, v22
	v_addc_co_u32_e32 v25, vcc, v2, v5, vcc
	s_mov_b64 s[38:39], 0
	v_mov_b32_e32 v9, v6
.LBB2_60:                               ;   Parent Loop BB2_23 Depth=1
                                        ; =>  This Inner Loop Header: Depth=2
	global_load_dwordx2 v[22:23], v[18:19], off glc slc
	v_add_co_u32_e32 v18, vcc, v18, v34
	v_sub_u32_e32 v9, v9, v20
	v_addc_co_u32_e32 v19, vcc, v19, v35, vcc
	v_mov_b32_e32 v5, v3
	v_cmp_gt_i32_e32 vcc, 1, v9
	s_or_b64 s[38:39], vcc, s[38:39]
	v_add_u32_e32 v0, v0, v20
	s_waitcnt vmcnt(0)
	v_mov_b32_e32 v4, v23
	v_or_b32_e32 v2, v22, v7
	v_or_b32_e32 v4, v4, v7
	global_store_dwordx4 v[24:25], v[2:5], off
	v_add_co_u32_e32 v24, vcc, v24, v10
	v_addc_co_u32_e32 v25, vcc, v25, v11, vcc
	s_andn2_b64 exec, exec, s[38:39]
	s_cbranch_execnz .LBB2_60
; %bb.61:                               ;   in Loop: Header=BB2_23 Depth=1
	s_or_b64 exec, exec, s[38:39]
	v_mov_b32_e32 v22, v30
.LBB2_62:                               ;   in Loop: Header=BB2_23 Depth=1
	s_or_b64 exec, exec, s[20:21]
	v_and_b32_e32 v46, 0x7ffffff8, v16
	v_cmp_eq_u64_e32 vcc, s[36:37], v[46:47]
	v_cmp_gt_i32_e64 s[20:21], v62, v0
	s_and_b64 s[20:21], vcc, s[20:21]
	s_and_saveexec_b64 s[38:39], s[20:21]
	s_cbranch_execz .LBB2_65
; %bb.63:                               ;   in Loop: Header=BB2_23 Depth=1
	v_mul_lo_u32 v4, v1, v62
	v_mov_b32_e32 v1, v16
	s_waitcnt vmcnt(0) lgkmcnt(0)
	v_add_co_u32_e64 v2, vcc, 0, 0
	v_ashrrev_i32_e32 v5, 31, v4
	v_addc_co_u32_e32 v3, vcc, 1, v1, vcc
	v_ashrrev_i32_e32 v1, 31, v0
	v_lshlrev_b64 v[18:19], 4, v[0:1]
	v_lshlrev_b64 v[4:5], 4, v[4:5]
	v_add_co_u32_e32 v1, vcc, v18, v4
	v_addc_co_u32_e32 v4, vcc, v19, v5, vcc
	v_add_co_u32_e32 v18, vcc, v48, v1
	v_addc_co_u32_e32 v19, vcc, v49, v4, vcc
	s_mov_b64 s[40:41], 0
.LBB2_64:                               ;   Parent Loop BB2_23 Depth=1
                                        ; =>  This Inner Loop Header: Depth=2
	v_mov_b32_e32 v4, v2
	v_mov_b32_e32 v5, v3
	v_add_u32_e32 v0, v0, v20
	global_store_dwordx4 v[18:19], v[2:5], off
	v_cmp_ge_i32_e32 vcc, v0, v62
	v_add_co_u32_e64 v18, s[20:21], v18, v10
	s_or_b64 s[40:41], vcc, s[40:41]
	v_addc_co_u32_e64 v19, vcc, v19, v11, s[20:21]
	s_andn2_b64 exec, exec, s[40:41]
	s_cbranch_execnz .LBB2_64
.LBB2_65:                               ;   in Loop: Header=BB2_23 Depth=1
	s_or_b64 exec, exec, s[38:39]
	v_accvgpr_read_b32 v0, a4
	v_accvgpr_read_b32 v1, a5
	v_add_co_u32_e32 v0, vcc, v44, v0
	v_accvgpr_write_b32 a6, v60
	v_addc_co_u32_e32 v1, vcc, v45, v1, vcc
	v_accvgpr_write_b32 a7, v61
	v_add_co_u32_e32 v60, vcc, 1, v16
	v_addc_co_u32_e32 v61, vcc, 0, v17, vcc
	v_accvgpr_write_b32 a38, v44
	s_andn2_b64 vcc, exec, s[34:35]
	v_lshlrev_b64 v[18:19], 3, v[0:1]
	v_accvgpr_write_b32 a39, v45
	s_cbranch_vccnz .LBB2_143
; %bb.66:                               ;   in Loop: Header=BB2_23 Depth=1
	v_accvgpr_read_b32 v0, a26
	v_add_co_u32_e32 v21, vcc, v0, v18
	v_accvgpr_read_b32 v0, a27
	v_addc_co_u32_e32 v9, vcc, v0, v19, vcc
	v_add_u16_e32 v52, 1, v16
	s_mov_b32 s54, 2
	s_branch .LBB2_68
.LBB2_67:                               ;   in Loop: Header=BB2_68 Depth=2
	s_or_b64 exec, exec, s[38:39]
	v_add_co_u32_e32 v38, vcc, 1, v38
	v_addc_co_u32_e32 v39, vcc, 0, v39, vcc
	s_add_i32 s54, s54, 1
	v_add_co_u32_e32 v60, vcc, 1, v60
	v_addc_co_u32_e32 v61, vcc, 0, v61, vcc
	s_cmp_eq_u32 s54, s22
	v_add_u16_e32 v52, 1, v52
	s_cbranch_scc1 .LBB2_144
.LBB2_68:                               ;   Parent Loop BB2_23 Depth=1
                                        ; =>  This Loop Header: Depth=2
                                        ;       Child Loop BB2_83 Depth 3
                                        ;       Child Loop BB2_99 Depth 3
	;; [unrolled: 1-line block ×3, first 2 shown]
                                        ;         Child Loop BB2_118 Depth 4
                                        ;       Child Loop BB2_132 Depth 3
                                        ;       Child Loop BB2_76 Depth 3
	s_sub_i32 s20, s22, s54
	s_ashr_i32 s21, s20, 31
	s_lshl_b64 s[20:21], s[20:21], 2
	v_mov_b32_e32 v1, s21
	v_add_co_u32_e32 v0, vcc, s20, v36
	v_addc_co_u32_e32 v1, vcc, v37, v1, vcc
	s_waitcnt vmcnt(0) lgkmcnt(0)
	flat_load_dword v2, v[0:1]
	s_and_saveexec_b64 s[20:21], s[6:7]
	s_cbranch_execnz .LBB2_77
; %bb.69:                               ;   in Loop: Header=BB2_68 Depth=2
	s_or_b64 exec, exec, s[20:21]
	s_and_saveexec_b64 s[20:21], s[10:11]
	s_cbranch_execnz .LBB2_92
.LBB2_70:                               ;   in Loop: Header=BB2_68 Depth=2
	s_or_b64 exec, exec, s[20:21]
	v_mov_b32_e32 v0, v22
	s_and_saveexec_b64 s[38:39], s[18:19]
	s_cbranch_execnz .LBB2_110
.LBB2_71:                               ;   in Loop: Header=BB2_68 Depth=2
	s_or_b64 exec, exec, s[38:39]
	s_and_saveexec_b64 s[20:21], s[10:11]
	s_cbranch_execnz .LBB2_125
.LBB2_72:                               ;   in Loop: Header=BB2_68 Depth=2
	s_or_b64 exec, exec, s[20:21]
	s_and_saveexec_b64 s[20:21], s[14:15]
	s_cbranch_execz .LBB2_74
.LBB2_73:                               ;   in Loop: Header=BB2_68 Depth=2
	v_add_co_u32_e32 v50, vcc, 1, v50
	s_waitcnt vmcnt(0) lgkmcnt(0)
	v_accvgpr_read_b32 v2, a16
	v_addc_co_u32_e32 v51, vcc, 0, v51, vcc
	v_accvgpr_read_b32 v3, a17
	flat_store_dwordx2 v[2:3], v[50:51]
.LBB2_74:                               ;   in Loop: Header=BB2_68 Depth=2
	s_or_b64 exec, exec, s[20:21]
	v_and_b32_e32 v46, 0x7ffffff8, v60
	v_cmp_eq_u64_e32 vcc, s[36:37], v[46:47]
	v_cmp_gt_i32_e64 s[20:21], v62, v0
	s_and_b64 s[20:21], vcc, s[20:21]
	s_and_saveexec_b64 s[38:39], s[20:21]
	s_cbranch_execz .LBB2_67
; %bb.75:                               ;   in Loop: Header=BB2_68 Depth=2
	v_and_b32_e32 v1, 7, v52
	s_waitcnt vmcnt(0) lgkmcnt(0)
	v_mul_lo_u32 v2, v62, v1
	v_ashrrev_i32_e32 v3, 31, v2
	v_lshlrev_b64 v[4:5], 4, v[2:3]
	v_mov_b32_e32 v1, v60
	v_add_co_u32_e64 v2, vcc, 0, 0
	v_addc_co_u32_e32 v3, vcc, 1, v1, vcc
	v_ashrrev_i32_e32 v1, 31, v0
	v_lshlrev_b64 v[16:17], 4, v[0:1]
	v_add_co_u32_e32 v1, vcc, v16, v4
	v_addc_co_u32_e32 v4, vcc, v17, v5, vcc
	v_add_co_u32_e32 v16, vcc, v48, v1
	v_addc_co_u32_e32 v17, vcc, v49, v4, vcc
	s_mov_b64 s[40:41], 0
.LBB2_76:                               ;   Parent Loop BB2_23 Depth=1
                                        ;     Parent Loop BB2_68 Depth=2
                                        ; =>    This Inner Loop Header: Depth=3
	v_mov_b32_e32 v4, v2
	v_mov_b32_e32 v5, v3
	v_add_u32_e32 v0, v0, v20
	global_store_dwordx4 v[16:17], v[2:5], off
	v_cmp_ge_i32_e32 vcc, v0, v62
	v_add_co_u32_e64 v16, s[20:21], v16, v10
	s_or_b64 s[40:41], vcc, s[40:41]
	v_addc_co_u32_e64 v17, vcc, v17, v11, s[20:21]
	s_andn2_b64 exec, exec, s[40:41]
	s_cbranch_execnz .LBB2_76
	s_branch .LBB2_67
.LBB2_77:                               ;   in Loop: Header=BB2_68 Depth=2
	v_add_co_u32_e32 v0, vcc, 1, v14
	v_addc_co_u32_e32 v1, vcc, 0, v15, vcc
	v_add_co_u32_e32 v4, vcc, 8, v40
	v_addc_co_u32_e32 v5, vcc, 0, v41, vcc
	v_cmp_lt_u64_e32 vcc, v[4:5], v[0:1]
	s_and_saveexec_b64 s[38:39], vcc
	s_cbranch_execz .LBB2_89
; %bb.78:                               ;   in Loop: Header=BB2_68 Depth=2
	s_sleep 1
	flat_load_dwordx2 v[40:41], v[54:55] glc
	v_cmp_eq_u32_e32 vcc, 0, v58
	s_and_saveexec_b64 s[40:41], vcc
	s_cbranch_execz .LBB2_88
; %bb.79:                               ;   in Loop: Header=BB2_68 Depth=2
	v_cndmask_b32_e64 v3, 0, 1, vcc
	s_mov_b64 s[42:43], 0
                                        ; implicit-def: $sgpr44_sgpr45
	s_branch .LBB2_83
.LBB2_80:                               ;   in Loop: Header=BB2_83 Depth=3
	s_or_b64 exec, exec, s[52:53]
	s_orn2_b64 s[50:51], s[50:51], exec
.LBB2_81:                               ;   in Loop: Header=BB2_83 Depth=3
	s_or_b64 exec, exec, s[48:49]
	s_xor_b64 vcc, s[50:51], -1
	s_andn2_b64 s[44:45], s[44:45], exec
	s_and_b64 vcc, vcc, exec
	s_or_b64 s[44:45], s[44:45], vcc
.LBB2_82:                               ;   in Loop: Header=BB2_83 Depth=3
	s_or_b64 exec, exec, s[46:47]
	s_and_b64 vcc, exec, s[44:45]
	s_or_b64 s[42:43], vcc, s[42:43]
	s_andn2_b64 exec, exec, s[42:43]
	s_cbranch_execz .LBB2_87
.LBB2_83:                               ;   Parent Loop BB2_23 Depth=1
                                        ;     Parent Loop BB2_68 Depth=2
                                        ; =>    This Inner Loop Header: Depth=3
	s_waitcnt vmcnt(0) lgkmcnt(0)
	v_add_co_u32_e32 v4, vcc, 8, v40
	v_addc_co_u32_e32 v5, vcc, 0, v41, vcc
	v_cmp_lt_u64_e32 vcc, v[4:5], v[0:1]
	v_mov_b32_e32 v58, 0
	s_or_b64 s[44:45], s[44:45], exec
	s_and_saveexec_b64 s[46:47], vcc
	s_cbranch_execz .LBB2_82
; %bb.84:                               ;   in Loop: Header=BB2_83 Depth=3
	s_sleep 1
	flat_load_dwordx2 v[40:41], v[54:55] glc
	v_add_u32_e32 v3, 1, v3
	v_cmp_eq_u32_e32 vcc, s23, v3
	s_mov_b64 s[50:51], -1
	v_mov_b32_e32 v58, 0
	s_and_saveexec_b64 s[48:49], vcc
	s_cbranch_execz .LBB2_81
; %bb.85:                               ;   in Loop: Header=BB2_83 Depth=3
	s_trap 2
	ds_read_b64 v[4:5], v0
	v_mov_b32_e32 v3, 0
	v_mov_b32_e32 v58, 0
	s_waitcnt vmcnt(0) lgkmcnt(0)
	flat_load_dword v4, v[4:5] glc
	s_waitcnt vmcnt(0) lgkmcnt(0)
	buffer_invl2
	buffer_wbinvl1_vol
	v_cmp_ne_u32_e32 vcc, 0, v4
	s_and_saveexec_b64 s[52:53], vcc
	s_cbranch_execz .LBB2_80
; %bb.86:                               ;   in Loop: Header=BB2_83 Depth=3
	v_mov_b32_e32 v58, 1
	s_xor_b64 s[50:51], exec, -1
	ds_write_b32 v0, v4
	s_trap 2
	s_branch .LBB2_80
.LBB2_87:                               ;   in Loop: Header=BB2_68 Depth=2
	s_or_b64 exec, exec, s[42:43]
.LBB2_88:                               ;   in Loop: Header=BB2_68 Depth=2
	s_or_b64 exec, exec, s[40:41]
.LBB2_89:                               ;   in Loop: Header=BB2_68 Depth=2
	s_or_b64 exec, exec, s[38:39]
	s_and_saveexec_b64 s[38:39], s[8:9]
	s_cbranch_execz .LBB2_91
; %bb.90:                               ;   in Loop: Header=BB2_68 Depth=2
	v_and_b32_e32 v46, 0x7ffffff8, v14
	v_cmp_eq_u64_e32 vcc, s[36:37], v[46:47]
	v_accvgpr_read_b32 v3, a40
	v_cndmask_b32_e32 v3, v3, v62, vcc
	v_lshlrev_b32_e32 v4, 4, v3
	v_and_b32_e32 v3, 7, v14
	v_ashrrev_i32_e32 v5, 31, v4
	v_mad_u64_u32 v[14:15], vcc, v3, 24, v[12:13]
	flat_store_dwordx2 v[14:15], v[4:5] offset:8
	s_waitcnt vmcnt(0)
.LBB2_91:                               ;   in Loop: Header=BB2_68 Depth=2
	s_or_b64 exec, exec, s[38:39]
	v_pk_mov_b32 v[14:15], v[0:1], v[0:1] op_sel:[0,1]
	s_or_b64 exec, exec, s[20:21]
	s_and_saveexec_b64 s[20:21], s[10:11]
	s_cbranch_execz .LBB2_70
.LBB2_92:                               ;   in Loop: Header=BB2_68 Depth=2
	s_and_saveexec_b64 vcc, s[30:31]
	s_xor_b64 s[38:39], exec, vcc
	s_cbranch_execz .LBB2_107
; %bb.93:                               ;   in Loop: Header=BB2_68 Depth=2
	s_and_saveexec_b64 s[40:41], s[12:13]
	s_cbranch_execz .LBB2_106
; %bb.94:                               ;   in Loop: Header=BB2_68 Depth=2
	s_mov_b64 s[44:45], exec
	v_mbcnt_lo_u32_b32 v0, s44, 0
	v_mbcnt_hi_u32_b32 v0, s45, v0
	v_cmp_eq_u32_e32 vcc, 0, v0
	s_waitcnt vmcnt(0) lgkmcnt(0)
	buffer_wbinvl1_vol
	s_and_saveexec_b64 s[42:43], vcc
	s_cbranch_execz .LBB2_96
; %bb.95:                               ;   in Loop: Header=BB2_68 Depth=2
	s_bcnt1_i32_b64 vcc_lo, s[44:45]
	v_mov_b32_e32 v46, vcc_lo
	ds_add_u64 v0, v[46:47]
	s_trap 2
.LBB2_96:                               ;   in Loop: Header=BB2_68 Depth=2
	s_or_b64 exec, exec, s[42:43]
	s_trap 2
	ds_read_b64 v[0:1], v0
	v_accvgpr_read_b32 v4, a22
	v_add_co_u32_e32 v42, vcc, v42, v4
	v_accvgpr_read_b32 v3, a23
	v_addc_co_u32_e32 v43, vcc, v43, v3, vcc
	s_waitcnt lgkmcnt(0)
	v_cmp_lt_u64_e32 vcc, v[0:1], v[42:43]
	s_and_saveexec_b64 s[42:43], vcc
	s_cbranch_execz .LBB2_105
; %bb.97:                               ;   in Loop: Header=BB2_68 Depth=2
	s_mov_b32 s55, 0
	s_mov_b64 s[44:45], 0
                                        ; implicit-def: $sgpr46_sgpr47
                                        ; implicit-def: $sgpr48_sgpr49
	s_branch .LBB2_99
.LBB2_98:                               ;   in Loop: Header=BB2_99 Depth=3
	s_or_b64 exec, exec, s[52:53]
	s_and_b64 vcc, exec, vcc
	s_or_b64 s[44:45], vcc, s[44:45]
	s_andn2_b64 vcc, s[46:47], exec
	s_and_b64 s[46:47], s[48:49], exec
	s_or_b64 s[46:47], vcc, s[46:47]
	s_andn2_b64 exec, exec, s[44:45]
	s_cbranch_execz .LBB2_103
.LBB2_99:                               ;   Parent Loop BB2_23 Depth=1
                                        ;     Parent Loop BB2_68 Depth=2
                                        ; =>    This Inner Loop Header: Depth=3
	s_add_i32 s55, s55, 1
	s_cmpk_lg_i32 s55, 0x2710
	s_cselect_b64 s[50:51], -1, 0
	s_and_b64 vcc, exec, s[50:51]
                                        ; implicit-def: $sgpr52_sgpr53
	s_cbranch_vccnz .LBB2_101
; %bb.100:                              ;   in Loop: Header=BB2_99 Depth=3
	s_trap 2
	ds_read_b64 v[0:1], v0
	s_andn2_b64 s[50:51], s[50:51], exec
	s_mov_b32 s55, 0
	s_mov_b64 s[52:53], -1
	s_waitcnt lgkmcnt(0)
	flat_load_dword v0, v[0:1] glc
	s_waitcnt vmcnt(0) lgkmcnt(0)
	buffer_invl2
	buffer_wbinvl1_vol
	v_cmp_eq_u32_e32 vcc, 0, v0
	s_and_b64 vcc, vcc, exec
	s_or_b64 s[50:51], s[50:51], vcc
.LBB2_101:                              ;   in Loop: Header=BB2_99 Depth=3
	s_andn2_b64 s[48:49], s[48:49], exec
	s_and_b64 s[52:53], s[52:53], exec
	s_mov_b64 vcc, -1
	s_or_b64 s[48:49], s[48:49], s[52:53]
	s_and_saveexec_b64 s[52:53], s[50:51]
	s_cbranch_execz .LBB2_98
; %bb.102:                              ;   in Loop: Header=BB2_99 Depth=3
	s_sleep 1
	s_trap 2
	ds_read_b64 v[0:1], v0
	s_andn2_b64 s[48:49], s[48:49], exec
	s_waitcnt lgkmcnt(0)
	v_cmp_ge_u64_e32 vcc, v[0:1], v[42:43]
	s_orn2_b64 vcc, vcc, exec
	s_branch .LBB2_98
.LBB2_103:                              ;   in Loop: Header=BB2_68 Depth=2
	s_or_b64 exec, exec, s[44:45]
	s_and_saveexec_b64 vcc, s[46:47]
	s_xor_b64 vcc, exec, vcc
	s_cbranch_execz .LBB2_105
; %bb.104:                              ;   in Loop: Header=BB2_68 Depth=2
	v_mov_b32_e32 v0, 1
	ds_write_b32 v0, v0
	s_trap 2
.LBB2_105:                              ;   in Loop: Header=BB2_68 Depth=2
	s_or_b64 exec, exec, s[42:43]
	;;#ASMSTART
	s_wakeup
	;;#ASMEND
.LBB2_106:                              ;   in Loop: Header=BB2_68 Depth=2
	s_or_b64 exec, exec, s[40:41]
.LBB2_107:                              ;   in Loop: Header=BB2_68 Depth=2
	s_andn2_saveexec_b64 vcc, s[38:39]
	s_cbranch_execz .LBB2_109
; %bb.108:                              ;   in Loop: Header=BB2_68 Depth=2
	s_waitcnt vmcnt(0) lgkmcnt(0)
	buffer_wbinvl1_vol
	s_barrier
.LBB2_109:                              ;   in Loop: Header=BB2_68 Depth=2
	s_or_b64 exec, exec, vcc
	s_or_b64 exec, exec, s[20:21]
	v_mov_b32_e32 v0, v22
	s_and_saveexec_b64 s[38:39], s[18:19]
	s_cbranch_execz .LBB2_71
.LBB2_110:                              ;   in Loop: Header=BB2_68 Depth=2
	s_waitcnt vmcnt(0) lgkmcnt(0)
	v_ashrrev_i32_e32 v0, 31, v2
	v_mul_lo_u32 v3, v57, v2
	v_mul_lo_u32 v4, v56, v0
	v_mad_u64_u32 v[0:1], s[20:21], v56, v2, 0
	v_add3_u32 v1, v1, v4, v3
	v_lshlrev_b64 v[0:1], 3, v[0:1]
	v_add_co_u32_e32 v44, vcc, v21, v0
	v_and_b32_e32 v0, 7, v38
	v_mul_lo_u32 v0, v0, v62
	v_addc_co_u32_e32 v45, vcc, v9, v1, vcc
	v_ashrrev_i32_e32 v1, 31, v0
	v_lshlrev_b64 v[0:1], 4, v[0:1]
	v_accvgpr_read_b32 v2, a14
	v_accvgpr_write_b32 a30, v53
	v_add_co_u32_e32 v53, vcc, v2, v0
	v_and_b32_e32 v0, 7, v60
	v_accvgpr_read_b32 v3, a15
	v_mul_lo_u32 v0, v0, v62
	v_addc_co_u32_e32 v46, vcc, v3, v1, vcc
	v_ashrrev_i32_e32 v1, 31, v0
	v_lshlrev_b64 v[0:1], 4, v[0:1]
	v_accvgpr_write_b32 a0, v36
	v_add_co_u32_e32 v33, vcc, v48, v0
	v_accvgpr_write_b32 a1, v37
	v_addc_co_u32_e32 v36, vcc, v49, v1, vcc
	v_accvgpr_write_b32 a43, v19
	v_mov_b32_e32 v1, v60
	v_add_co_u32_e64 v37, vcc, 0, 0
	v_accvgpr_write_b32 a42, v18
	v_add_u32_e32 v32, 1, v38
	v_addc_co_u32_e32 v3, vcc, 1, v1, vcc
	s_mov_b64 s[40:41], 0
	v_mov_b32_e32 v29, v58
	v_mov_b32_e32 v7, v6
	;; [unrolled: 1-line block ×3, first 2 shown]
	s_branch .LBB2_114
.LBB2_111:                              ;   in Loop: Header=BB2_114 Depth=3
	s_or_b64 exec, exec, s[46:47]
.LBB2_112:                              ;   in Loop: Header=BB2_114 Depth=3
	s_or_b64 exec, exec, s[44:45]
.LBB2_113:                              ;   in Loop: Header=BB2_114 Depth=3
	s_or_b64 exec, exec, s[42:43]
	v_add_co_u32_e32 v44, vcc, v44, v34
	v_addc_co_u32_e32 v45, vcc, v45, v35, vcc
	s_waitcnt vmcnt(0)
	v_add_co_u32_e32 v1, vcc, v16, v4
	v_addc_co_u32_e32 v4, vcc, 0, v5, vcc
	v_add_co_u32_e32 v16, vcc, v33, v22
	v_addc_co_u32_e32 v17, vcc, v36, v23, vcc
	v_sub_u32_e32 v7, v7, v20
	v_or_b32_e32 v2, v1, v37
	v_add_u32_e32 v1, v4, v18
	v_cmp_gt_i32_e32 vcc, 1, v7
	v_or_b32_e32 v4, v37, v1
	v_mov_b32_e32 v5, v3
	s_or_b64 s[40:41], vcc, s[40:41]
	v_add_u32_e32 v0, v0, v20
	global_store_dwordx4 v[16:17], v[2:5], off
	s_andn2_b64 exec, exec, s[40:41]
	s_cbranch_execz .LBB2_124
.LBB2_114:                              ;   Parent Loop BB2_23 Depth=1
                                        ;     Parent Loop BB2_68 Depth=2
                                        ; =>    This Loop Header: Depth=3
                                        ;         Child Loop BB2_118 Depth 4
	v_ashrrev_i32_e32 v1, 31, v0
	v_lshlrev_b64 v[22:23], 4, v[0:1]
	v_add_co_u32_e32 v24, vcc, v53, v22
	v_addc_co_u32_e32 v25, vcc, v46, v23, vcc
	global_load_dwordx2 v[4:5], v[44:45], off glc slc
	global_load_dwordx4 v[16:19], v[24:25], off glc slc
	v_cmp_eq_u32_e32 vcc, 0, v29
	s_and_saveexec_b64 s[42:43], vcc
	s_cbranch_execz .LBB2_113
; %bb.115:                              ;   in Loop: Header=BB2_114 Depth=3
	s_waitcnt vmcnt(0)
	v_cmp_ne_u32_e32 vcc, v32, v17
	v_cmp_ne_u32_e64 s[20:21], v32, v19
	s_or_b64 s[20:21], vcc, s[20:21]
	v_mov_b32_e32 v29, 0
	s_and_saveexec_b64 s[44:45], s[20:21]
	s_cbranch_execz .LBB2_112
; %bb.116:                              ;   in Loop: Header=BB2_114 Depth=3
	s_mov_b32 s50, 1
	s_mov_b64 s[46:47], 0
	v_mov_b32_e32 v29, 0
	s_branch .LBB2_118
.LBB2_117:                              ;   in Loop: Header=BB2_118 Depth=4
	s_or_b64 exec, exec, s[48:49]
	s_and_b64 s[20:21], exec, s[20:21]
	s_or_b64 s[46:47], s[20:21], s[46:47]
	s_andn2_b64 exec, exec, s[46:47]
	s_cbranch_execz .LBB2_111
.LBB2_118:                              ;   Parent Loop BB2_23 Depth=1
                                        ;     Parent Loop BB2_68 Depth=2
                                        ;       Parent Loop BB2_114 Depth=3
                                        ; =>      This Inner Loop Header: Depth=4
	global_load_dwordx4 v[16:19], v[24:25], off glc slc
	s_add_i32 s50, s50, 1
	s_cmpk_lg_i32 s50, 0x2710
	s_cbranch_scc1 .LBB2_122
; %bb.119:                              ;   in Loop: Header=BB2_118 Depth=4
	s_trap 2
	ds_read_b64 v[26:27], v0
	v_mov_b32_e32 v29, v58
	s_waitcnt vmcnt(0) lgkmcnt(0)
	flat_load_dword v1, v[26:27] glc
	s_waitcnt vmcnt(0) lgkmcnt(0)
	buffer_invl2
	buffer_wbinvl1_vol
	v_cmp_ne_u32_e32 vcc, 0, v1
	s_and_saveexec_b64 s[20:21], vcc
	s_cbranch_execz .LBB2_121
; %bb.120:                              ;   in Loop: Header=BB2_118 Depth=4
	v_or_b32_e32 v29, 1, v58
	v_mov_b32_e32 v58, 1
	ds_write_b32 v0, v1
	s_trap 2
.LBB2_121:                              ;   in Loop: Header=BB2_118 Depth=4
	s_or_b64 exec, exec, s[20:21]
	v_mov_b32_e32 v1, v58
	s_mov_b32 s50, 0
	v_mov_b32_e32 v58, v29
	v_cmp_eq_u32_e32 vcc, 0, v1
	s_mov_b64 s[20:21], -1
	s_and_saveexec_b64 s[48:49], vcc
	s_cbranch_execz .LBB2_117
	s_branch .LBB2_123
.LBB2_122:                              ;   in Loop: Header=BB2_118 Depth=4
	v_mov_b32_e32 v1, 0
	v_cmp_eq_u32_e32 vcc, 0, v1
	s_mov_b64 s[20:21], -1
	s_and_saveexec_b64 s[48:49], vcc
	s_cbranch_execz .LBB2_117
.LBB2_123:                              ;   in Loop: Header=BB2_118 Depth=4
	s_waitcnt vmcnt(0)
	v_cmp_eq_u32_e32 vcc, v32, v17
	v_cmp_eq_u32_e64 s[20:21], v32, v19
	s_and_b64 s[20:21], vcc, s[20:21]
	s_orn2_b64 s[20:21], s[20:21], exec
	s_branch .LBB2_117
.LBB2_124:                              ;   in Loop: Header=BB2_68 Depth=2
	s_or_b64 exec, exec, s[40:41]
	v_accvgpr_read_b32 v37, a1
	v_accvgpr_read_b32 v45, a39
	;; [unrolled: 1-line block ×3, first 2 shown]
	v_mov_b32_e32 v22, v30
	v_accvgpr_read_b32 v36, a0
	v_accvgpr_read_b32 v53, a30
	;; [unrolled: 1-line block ×4, first 2 shown]
	s_or_b64 exec, exec, s[38:39]
	s_and_saveexec_b64 s[20:21], s[10:11]
	s_cbranch_execz .LBB2_72
.LBB2_125:                              ;   in Loop: Header=BB2_68 Depth=2
	s_and_saveexec_b64 vcc, s[30:31]
	s_xor_b64 s[38:39], exec, vcc
	s_cbranch_execz .LBB2_140
; %bb.126:                              ;   in Loop: Header=BB2_68 Depth=2
	s_and_saveexec_b64 s[40:41], s[12:13]
	s_cbranch_execz .LBB2_139
; %bb.127:                              ;   in Loop: Header=BB2_68 Depth=2
	s_mov_b64 s[44:45], exec
	v_mbcnt_lo_u32_b32 v1, s44, 0
	v_mbcnt_hi_u32_b32 v1, s45, v1
	v_cmp_eq_u32_e32 vcc, 0, v1
	s_waitcnt vmcnt(0) lgkmcnt(0)
	buffer_wbinvl1_vol
	s_and_saveexec_b64 s[42:43], vcc
	s_cbranch_execz .LBB2_129
; %bb.128:                              ;   in Loop: Header=BB2_68 Depth=2
	s_bcnt1_i32_b64 vcc_lo, s[44:45]
	v_mov_b32_e32 v46, vcc_lo
	ds_add_u64 v0, v[46:47]
	s_trap 2
.LBB2_129:                              ;   in Loop: Header=BB2_68 Depth=2
	s_or_b64 exec, exec, s[42:43]
	s_trap 2
	ds_read_b64 v[2:3], v0
	v_accvgpr_read_b32 v4, a22
	v_add_co_u32_e32 v42, vcc, v42, v4
	v_accvgpr_read_b32 v1, a23
	v_addc_co_u32_e32 v43, vcc, v43, v1, vcc
	s_waitcnt lgkmcnt(0)
	v_cmp_lt_u64_e32 vcc, v[2:3], v[42:43]
	s_and_saveexec_b64 s[42:43], vcc
	s_cbranch_execz .LBB2_138
; %bb.130:                              ;   in Loop: Header=BB2_68 Depth=2
	s_mov_b32 s55, 0
	s_mov_b64 s[44:45], 0
                                        ; implicit-def: $sgpr46_sgpr47
                                        ; implicit-def: $sgpr48_sgpr49
	s_branch .LBB2_132
.LBB2_131:                              ;   in Loop: Header=BB2_132 Depth=3
	s_or_b64 exec, exec, s[52:53]
	s_and_b64 vcc, exec, vcc
	s_or_b64 s[44:45], vcc, s[44:45]
	s_andn2_b64 vcc, s[46:47], exec
	s_and_b64 s[46:47], s[48:49], exec
	s_or_b64 s[46:47], vcc, s[46:47]
	s_andn2_b64 exec, exec, s[44:45]
	s_cbranch_execz .LBB2_136
.LBB2_132:                              ;   Parent Loop BB2_23 Depth=1
                                        ;     Parent Loop BB2_68 Depth=2
                                        ; =>    This Inner Loop Header: Depth=3
	s_add_i32 s55, s55, 1
	s_cmpk_lg_i32 s55, 0x2710
	s_cselect_b64 s[50:51], -1, 0
	s_and_b64 vcc, exec, s[50:51]
                                        ; implicit-def: $sgpr52_sgpr53
	s_cbranch_vccnz .LBB2_134
; %bb.133:                              ;   in Loop: Header=BB2_132 Depth=3
	s_trap 2
	ds_read_b64 v[2:3], v0
	s_andn2_b64 s[50:51], s[50:51], exec
	s_mov_b32 s55, 0
	s_mov_b64 s[52:53], -1
	s_waitcnt lgkmcnt(0)
	flat_load_dword v1, v[2:3] glc
	s_waitcnt vmcnt(0) lgkmcnt(0)
	buffer_invl2
	buffer_wbinvl1_vol
	v_cmp_eq_u32_e32 vcc, 0, v1
	s_and_b64 vcc, vcc, exec
	s_or_b64 s[50:51], s[50:51], vcc
.LBB2_134:                              ;   in Loop: Header=BB2_132 Depth=3
	s_andn2_b64 s[48:49], s[48:49], exec
	s_and_b64 s[52:53], s[52:53], exec
	s_mov_b64 vcc, -1
	s_or_b64 s[48:49], s[48:49], s[52:53]
	s_and_saveexec_b64 s[52:53], s[50:51]
	s_cbranch_execz .LBB2_131
; %bb.135:                              ;   in Loop: Header=BB2_132 Depth=3
	s_sleep 1
	s_trap 2
	ds_read_b64 v[2:3], v0
	s_andn2_b64 s[48:49], s[48:49], exec
	s_waitcnt lgkmcnt(0)
	v_cmp_ge_u64_e32 vcc, v[2:3], v[42:43]
	s_orn2_b64 vcc, vcc, exec
	s_branch .LBB2_131
.LBB2_136:                              ;   in Loop: Header=BB2_68 Depth=2
	s_or_b64 exec, exec, s[44:45]
	s_and_saveexec_b64 vcc, s[46:47]
	s_xor_b64 vcc, exec, vcc
	s_cbranch_execz .LBB2_138
; %bb.137:                              ;   in Loop: Header=BB2_68 Depth=2
	v_mov_b32_e32 v1, 1
	ds_write_b32 v0, v1
	s_trap 2
.LBB2_138:                              ;   in Loop: Header=BB2_68 Depth=2
	s_or_b64 exec, exec, s[42:43]
	;;#ASMSTART
	s_wakeup
	;;#ASMEND
.LBB2_139:                              ;   in Loop: Header=BB2_68 Depth=2
	s_or_b64 exec, exec, s[40:41]
.LBB2_140:                              ;   in Loop: Header=BB2_68 Depth=2
	s_andn2_saveexec_b64 vcc, s[38:39]
	s_cbranch_execz .LBB2_142
; %bb.141:                              ;   in Loop: Header=BB2_68 Depth=2
	s_waitcnt vmcnt(0) lgkmcnt(0)
	buffer_wbinvl1_vol
	s_barrier
.LBB2_142:                              ;   in Loop: Header=BB2_68 Depth=2
	s_or_b64 exec, exec, vcc
	s_or_b64 exec, exec, s[20:21]
	s_and_saveexec_b64 s[20:21], s[14:15]
	s_cbranch_execnz .LBB2_73
	s_branch .LBB2_74
.LBB2_143:                              ;   in Loop: Header=BB2_23 Depth=1
	v_pk_mov_b32 v[16:17], v[60:61], v[60:61] op_sel:[0,1]
	v_accvgpr_read_b32 v61, a7
	v_accvgpr_read_b32 v60, a6
	s_and_saveexec_b64 s[20:21], s[18:19]
	s_cbranch_execnz .LBB2_145
	s_branch .LBB2_164
.LBB2_144:                              ;   in Loop: Header=BB2_23 Depth=1
	v_pk_mov_b32 v[16:17], v[60:61], v[60:61] op_sel:[0,1]
	v_accvgpr_read_b32 v33, a19
	v_accvgpr_read_b32 v61, a7
	;; [unrolled: 1-line block ×4, first 2 shown]
	s_and_saveexec_b64 s[20:21], s[18:19]
	s_cbranch_execz .LBB2_164
.LBB2_145:                              ;   in Loop: Header=BB2_23 Depth=1
	flat_load_dword v4, v[36:37]
	s_waitcnt vmcnt(0) lgkmcnt(0)
	v_accvgpr_read_b32 v2, a8
	v_accvgpr_read_b32 v3, a9
	v_add_co_u32_e32 v5, vcc, v2, v18
	v_addc_co_u32_e32 v7, vcc, v3, v19, vcc
	v_accvgpr_read_b32 v0, a28
	v_and_b32_e32 v2, 7, v38
	v_add_co_u32_e32 v0, vcc, v0, v18
	v_accvgpr_read_b32 v1, a29
	v_mul_lo_u32 v2, v2, v62
	v_addc_co_u32_e32 v1, vcc, v1, v19, vcc
	v_ashrrev_i32_e32 v3, 31, v2
	v_accvgpr_read_b32 v19, a15
	v_lshlrev_b64 v[2:3], 4, v[2:3]
	v_accvgpr_read_b32 v18, a14
	v_add_co_u32_e32 v21, vcc, v18, v2
	v_addc_co_u32_e32 v52, vcc, v19, v3, vcc
	v_add_u32_e32 v9, 1, v38
	s_mov_b64 s[38:39], 0
	v_mov_b32_e32 v24, v22
	v_ashrrev_i32_e32 v18, 31, v4
	v_mul_lo_u32 v19, v57, v4
	v_mad_u64_u32 v[2:3], s[18:19], v56, v4, 0
	v_mul_lo_u32 v4, v56, v18
	v_add3_u32 v3, v3, v4, v19
	v_lshlrev_b64 v[2:3], 3, v[2:3]
	v_add_co_u32_e32 v2, vcc, v5, v2
	v_addc_co_u32_e32 v3, vcc, v7, v3, vcc
	v_accvgpr_read_b32 v4, a24
	v_accvgpr_read_b32 v5, a25
	v_add_co_u32_e32 v18, vcc, v2, v4
	v_addc_co_u32_e32 v19, vcc, v3, v5, vcc
	s_branch .LBB2_147
.LBB2_146:                              ;   in Loop: Header=BB2_147 Depth=2
	v_add_co_u32_e32 v18, vcc, v18, v34
	v_addc_co_u32_e32 v19, vcc, v19, v35, vcc
	v_add_co_u32_e32 v0, vcc, v0, v34
	v_addc_co_u32_e32 v1, vcc, v1, v35, vcc
	v_sub_u32_e32 v6, v6, v20
	v_cmp_gt_i32_e32 vcc, 1, v6
	s_or_b64 s[38:39], vcc, s[38:39]
	v_add_u32_e32 v24, v24, v20
	s_andn2_b64 exec, exec, s[38:39]
	s_cbranch_execz .LBB2_163
.LBB2_147:                              ;   Parent Loop BB2_23 Depth=1
                                        ; =>  This Loop Header: Depth=2
                                        ;       Child Loop BB2_151 Depth 3
	v_ashrrev_i32_e32 v25, 31, v24
	v_lshlrev_b64 v[2:3], 4, v[24:25]
	v_add_co_u32_e32 v44, vcc, v21, v2
	v_addc_co_u32_e32 v45, vcc, v52, v3, vcc
	global_load_dwordx2 v[22:23], v[18:19], off glc slc
	global_load_dwordx4 v[2:5], v[44:45], off glc slc
	v_cmp_eq_u32_e32 vcc, 0, v58
	s_and_saveexec_b64 s[40:41], vcc
	s_cbranch_execz .LBB2_159
; %bb.148:                              ;   in Loop: Header=BB2_147 Depth=2
	s_waitcnt vmcnt(0)
	v_cmp_ne_u32_e32 vcc, v9, v3
	v_cmp_ne_u32_e64 s[18:19], v9, v5
	s_or_b64 s[18:19], vcc, s[18:19]
	v_mov_b32_e32 v58, 0
	s_and_saveexec_b64 s[42:43], s[18:19]
	s_cbranch_execz .LBB2_158
; %bb.149:                              ;   in Loop: Header=BB2_147 Depth=2
	s_mov_b32 s48, 1
	s_mov_b64 s[44:45], 0
	v_mov_b32_e32 v58, 0
	s_branch .LBB2_151
.LBB2_150:                              ;   in Loop: Header=BB2_151 Depth=3
	s_or_b64 exec, exec, s[46:47]
	s_and_b64 s[18:19], exec, s[18:19]
	s_or_b64 s[44:45], s[18:19], s[44:45]
	s_andn2_b64 exec, exec, s[44:45]
	s_cbranch_execz .LBB2_157
.LBB2_151:                              ;   Parent Loop BB2_23 Depth=1
                                        ;     Parent Loop BB2_147 Depth=2
                                        ; =>    This Inner Loop Header: Depth=3
	global_load_dwordx4 v[2:5], v[44:45], off glc slc
	s_add_i32 s48, s48, 1
	s_cmpk_lg_i32 s48, 0x2710
	s_cbranch_scc1 .LBB2_155
; %bb.152:                              ;   in Loop: Header=BB2_151 Depth=3
	s_trap 2
	ds_read_b64 v[32:33], v0
	s_waitcnt vmcnt(0) lgkmcnt(0)
	flat_load_dword v7, v[32:33] glc
	s_waitcnt vmcnt(0) lgkmcnt(0)
	buffer_invl2
	buffer_wbinvl1_vol
	v_cmp_ne_u32_e32 vcc, 0, v7
	s_and_saveexec_b64 s[18:19], vcc
	s_cbranch_execz .LBB2_154
; %bb.153:                              ;   in Loop: Header=BB2_151 Depth=3
	v_mov_b32_e32 v58, 1
	ds_write_b32 v0, v7
	s_trap 2
.LBB2_154:                              ;   in Loop: Header=BB2_151 Depth=3
	s_or_b64 exec, exec, s[18:19]
	s_mov_b32 s48, 0
	v_mov_b32_e32 v7, v58
	v_cmp_eq_u32_e32 vcc, 0, v7
	s_mov_b64 s[18:19], -1
	s_and_saveexec_b64 s[46:47], vcc
	s_cbranch_execz .LBB2_150
	s_branch .LBB2_156
.LBB2_155:                              ;   in Loop: Header=BB2_151 Depth=3
	v_mov_b32_e32 v7, 0
	v_cmp_eq_u32_e32 vcc, 0, v7
	s_mov_b64 s[18:19], -1
	s_and_saveexec_b64 s[46:47], vcc
	s_cbranch_execz .LBB2_150
.LBB2_156:                              ;   in Loop: Header=BB2_151 Depth=3
	s_waitcnt vmcnt(0)
	v_cmp_eq_u32_e32 vcc, v9, v3
	v_cmp_eq_u32_e64 s[18:19], v9, v5
	s_and_b64 s[18:19], vcc, s[18:19]
	s_orn2_b64 s[18:19], s[18:19], exec
	s_branch .LBB2_150
.LBB2_157:                              ;   in Loop: Header=BB2_147 Depth=2
	s_or_b64 exec, exec, s[44:45]
.LBB2_158:                              ;   in Loop: Header=BB2_147 Depth=2
	s_or_b64 exec, exec, s[42:43]
.LBB2_159:                              ;   in Loop: Header=BB2_147 Depth=2
	s_or_b64 exec, exec, s[40:41]
	s_waitcnt vmcnt(0)
	v_add_co_u32_e32 v2, vcc, v2, v22
	v_mov_b32_e32 v3, v4
	v_addc_co_u32_e32 v4, vcc, 0, v23, vcc
	v_add_co_u32_e32 v2, vcc, 0, v2
	v_addc_co_u32_e32 v3, vcc, v4, v3, vcc
	v_cmp_gt_i64_e32 vcc, 0, v[2:3]
	v_sub_co_u32_e64 v4, s[18:19], 0, v2
	s_and_b64 vcc, s[16:17], vcc
	v_subb_co_u32_e64 v5, s[18:19], 0, v3, s[18:19]
	v_cndmask_b32_e32 v25, v2, v4, vcc
	v_cndmask_b32_e32 v7, v3, v5, vcc
	v_mul_hi_u32 v46, v25, v28
	v_mad_u64_u32 v[2:3], s[18:19], v7, v28, v[46:47]
	v_mov_b32_e32 v46, v2
	v_mov_b32_e32 v2, v3
	;; [unrolled: 1-line block ×3, first 2 shown]
	v_mad_u64_u32 v[4:5], s[18:19], v25, v8, v[46:47]
	v_mad_u64_u32 v[2:3], s[18:19], v7, v8, v[2:3]
	v_mov_b32_e32 v4, v5
	v_add_co_u32_e64 v26, s[18:19], v2, v4
	v_addc_co_u32_e64 v27, s[18:19], 0, v3, s[18:19]
	v_mad_u64_u32 v[2:3], s[18:19], v26, v60, 0
	v_mov_b32_e32 v4, v3
	v_mad_u64_u32 v[4:5], s[18:19], v27, v60, v[4:5]
	v_mov_b32_e32 v3, v4
	v_sub_co_u32_e64 v2, s[18:19], v25, v2
	v_subb_co_u32_e64 v3, s[18:19], v7, v3, s[18:19]
	v_cmp_ge_u64_e64 s[18:19], v[2:3], v[60:61]
	v_cndmask_b32_e64 v2, 0, 1, s[18:19]
	v_add_co_u32_e64 v2, s[18:19], v26, v2
	v_addc_co_u32_e64 v3, s[18:19], 0, v27, s[18:19]
	v_sub_co_u32_e64 v4, s[18:19], 0, v2
	v_subb_co_u32_e64 v5, s[18:19], 0, v3, s[18:19]
	v_cndmask_b32_e32 v2, v2, v4, vcc
	v_mov_b32_e32 v4, v53
	v_cndmask_b32_e32 v3, v3, v5, vcc
	;;#ASMSTART
	;;#ASMEND
	v_cmp_ne_u32_e32 vcc, 0, v4
	s_cmp_lg_u64 vcc, exec
	s_mov_b64 s[18:19], -1
	s_cbranch_scc0 .LBB2_161
; %bb.160:                              ;   in Loop: Header=BB2_147 Depth=2
	flat_store_dwordx2 v[0:1], v[2:3]
	s_mov_b64 s[18:19], 0
.LBB2_161:                              ;   in Loop: Header=BB2_147 Depth=2
	s_andn2_b64 vcc, exec, s[18:19]
	s_cbranch_vccnz .LBB2_146
; %bb.162:                              ;   in Loop: Header=BB2_147 Depth=2
	global_store_dwordx2 v[0:1], v[2:3], off
	s_branch .LBB2_146
.LBB2_163:                              ;   in Loop: Header=BB2_23 Depth=1
	s_or_b64 exec, exec, s[38:39]
	v_accvgpr_read_b32 v33, a19
	v_accvgpr_read_b32 v45, a39
	v_mov_b32_e32 v22, v30
	v_accvgpr_read_b32 v32, a18
	v_accvgpr_read_b32 v44, a38
.LBB2_164:                              ;   in Loop: Header=BB2_23 Depth=1
	s_or_b64 exec, exec, s[20:21]
	s_and_saveexec_b64 s[18:19], s[10:11]
	s_cbranch_execnz .LBB2_166
; %bb.165:                              ;   in Loop: Header=BB2_23 Depth=1
	s_or_b64 exec, exec, s[18:19]
	s_and_saveexec_b64 s[18:19], s[14:15]
	s_cbranch_execz .LBB2_22
	s_branch .LBB2_184
.LBB2_166:                              ;   in Loop: Header=BB2_23 Depth=1
	s_and_saveexec_b64 s[20:21], s[30:31]
	s_xor_b64 s[20:21], exec, s[20:21]
	s_cbranch_execz .LBB2_181
; %bb.167:                              ;   in Loop: Header=BB2_23 Depth=1
	s_and_saveexec_b64 s[38:39], s[12:13]
	s_cbranch_execz .LBB2_180
; %bb.168:                              ;   in Loop: Header=BB2_23 Depth=1
	s_mov_b64 s[42:43], exec
	v_mbcnt_lo_u32_b32 v0, s42, 0
	v_mbcnt_hi_u32_b32 v0, s43, v0
	v_cmp_eq_u32_e32 vcc, 0, v0
	s_waitcnt vmcnt(0) lgkmcnt(0)
	buffer_wbinvl1_vol
	s_and_saveexec_b64 s[40:41], vcc
	s_cbranch_execz .LBB2_170
; %bb.169:                              ;   in Loop: Header=BB2_23 Depth=1
	s_bcnt1_i32_b64 vcc_lo, s[42:43]
	v_mov_b32_e32 v46, vcc_lo
	ds_add_u64 v0, v[46:47]
	s_trap 2
.LBB2_170:                              ;   in Loop: Header=BB2_23 Depth=1
	s_or_b64 exec, exec, s[40:41]
	s_trap 2
	ds_read_b64 v[0:1], v0
	v_accvgpr_read_b32 v2, a22
	v_add_co_u32_e32 v42, vcc, v42, v2
	v_accvgpr_read_b32 v3, a23
	v_addc_co_u32_e32 v43, vcc, v43, v3, vcc
	s_waitcnt lgkmcnt(0)
	v_cmp_lt_u64_e32 vcc, v[0:1], v[42:43]
	s_and_saveexec_b64 s[40:41], vcc
	s_cbranch_execz .LBB2_179
; %bb.171:                              ;   in Loop: Header=BB2_23 Depth=1
	s_mov_b32 s52, 0
	s_mov_b64 s[42:43], 0
                                        ; implicit-def: $sgpr44_sgpr45
                                        ; implicit-def: $sgpr46_sgpr47
	s_branch .LBB2_173
.LBB2_172:                              ;   in Loop: Header=BB2_173 Depth=2
	s_or_b64 exec, exec, s[50:51]
	s_and_b64 vcc, exec, vcc
	s_or_b64 s[42:43], vcc, s[42:43]
	s_andn2_b64 vcc, s[44:45], exec
	s_and_b64 s[44:45], s[46:47], exec
	s_or_b64 s[44:45], vcc, s[44:45]
	s_andn2_b64 exec, exec, s[42:43]
	s_cbranch_execz .LBB2_177
.LBB2_173:                              ;   Parent Loop BB2_23 Depth=1
                                        ; =>  This Inner Loop Header: Depth=2
	s_add_i32 s52, s52, 1
	s_cmpk_lg_i32 s52, 0x2710
	s_cselect_b64 s[48:49], -1, 0
	s_and_b64 vcc, exec, s[48:49]
                                        ; implicit-def: $sgpr50_sgpr51
	s_cbranch_vccnz .LBB2_175
; %bb.174:                              ;   in Loop: Header=BB2_173 Depth=2
	s_trap 2
	ds_read_b64 v[0:1], v0
	s_andn2_b64 s[48:49], s[48:49], exec
	s_mov_b32 s52, 0
	s_mov_b64 s[50:51], -1
	s_waitcnt lgkmcnt(0)
	flat_load_dword v0, v[0:1] glc
	s_waitcnt vmcnt(0) lgkmcnt(0)
	buffer_invl2
	buffer_wbinvl1_vol
	v_cmp_eq_u32_e32 vcc, 0, v0
	s_and_b64 vcc, vcc, exec
	s_or_b64 s[48:49], s[48:49], vcc
.LBB2_175:                              ;   in Loop: Header=BB2_173 Depth=2
	s_andn2_b64 s[46:47], s[46:47], exec
	s_and_b64 s[50:51], s[50:51], exec
	s_mov_b64 vcc, -1
	s_or_b64 s[46:47], s[46:47], s[50:51]
	s_and_saveexec_b64 s[50:51], s[48:49]
	s_cbranch_execz .LBB2_172
; %bb.176:                              ;   in Loop: Header=BB2_173 Depth=2
	s_sleep 1
	s_trap 2
	ds_read_b64 v[0:1], v0
	s_andn2_b64 s[46:47], s[46:47], exec
	s_waitcnt lgkmcnt(0)
	v_cmp_ge_u64_e32 vcc, v[0:1], v[42:43]
	s_orn2_b64 vcc, vcc, exec
	s_branch .LBB2_172
.LBB2_177:                              ;   in Loop: Header=BB2_23 Depth=1
	s_or_b64 exec, exec, s[42:43]
	s_and_saveexec_b64 vcc, s[44:45]
	s_xor_b64 vcc, exec, vcc
	s_cbranch_execz .LBB2_179
; %bb.178:                              ;   in Loop: Header=BB2_23 Depth=1
	v_mov_b32_e32 v0, 1
	ds_write_b32 v0, v0
	s_trap 2
.LBB2_179:                              ;   in Loop: Header=BB2_23 Depth=1
	s_or_b64 exec, exec, s[40:41]
	;;#ASMSTART
	s_wakeup
	;;#ASMEND
.LBB2_180:                              ;   in Loop: Header=BB2_23 Depth=1
	s_or_b64 exec, exec, s[38:39]
.LBB2_181:                              ;   in Loop: Header=BB2_23 Depth=1
	s_andn2_saveexec_b64 s[20:21], s[20:21]
	s_cbranch_execz .LBB2_183
; %bb.182:                              ;   in Loop: Header=BB2_23 Depth=1
	s_waitcnt vmcnt(0) lgkmcnt(0)
	buffer_wbinvl1_vol
	s_barrier
.LBB2_183:                              ;   in Loop: Header=BB2_23 Depth=1
	s_or_b64 exec, exec, s[20:21]
	s_or_b64 exec, exec, s[18:19]
	s_and_saveexec_b64 s[18:19], s[14:15]
	s_cbranch_execz .LBB2_22
.LBB2_184:                              ;   in Loop: Header=BB2_23 Depth=1
	v_add_co_u32_e32 v50, vcc, 1, v50
	v_accvgpr_read_b32 v0, a16
	v_addc_co_u32_e32 v51, vcc, 0, v51, vcc
	v_accvgpr_read_b32 v1, a17
	flat_store_dwordx2 v[0:1], v[50:51]
	s_branch .LBB2_22
.LBB2_185:
	s_or_b64 exec, exec, s[28:29]
	v_accvgpr_read_b32 v33, a11
	v_accvgpr_read_b32 v35, a13
	;; [unrolled: 1-line block ×4, first 2 shown]
.LBB2_186:
	s_or_b64 exec, exec, s[26:27]
; %bb.187:
	s_and_saveexec_b64 s[6:7], s[24:25]
	s_cbranch_execnz .LBB2_190
; %bb.188:
	s_or_b64 exec, exec, s[6:7]
	s_and_saveexec_b64 s[6:7], s[4:5]
	s_cbranch_execnz .LBB2_191
.LBB2_189:
	s_or_b64 exec, exec, s[6:7]
	v_cmp_ne_u32_e32 vcc, 64, v20
	s_and_saveexec_b64 s[4:5], vcc
	s_cbranch_execnz .LBB2_192
	s_branch .LBB2_209
.LBB2_190:
	s_waitcnt vmcnt(0) lgkmcnt(0)
	flat_store_dwordx2 v[34:35], v[50:51] offset:104
	s_or_b64 exec, exec, s[6:7]
	s_and_saveexec_b64 s[6:7], s[4:5]
	s_cbranch_execz .LBB2_189
.LBB2_191:
	s_waitcnt vmcnt(0) lgkmcnt(0)
	flat_store_dwordx2 v[32:33], v[14:15] offset:104
	s_or_b64 exec, exec, s[6:7]
	v_cmp_ne_u32_e32 vcc, 64, v20
	s_and_saveexec_b64 s[4:5], vcc
	s_cbranch_execz .LBB2_209
.LBB2_192:
	s_waitcnt vmcnt(0)
	v_cmp_ne_u32_sdwa s[6:7], v59, v20 src0_sel:WORD_0 src1_sel:DWORD
	s_and_saveexec_b64 s[8:9], s[6:7]
	s_xor_b64 s[6:7], exec, s[8:9]
	s_cbranch_execz .LBB2_207
; %bb.193:
	v_and_b32_e32 v0, 63, v31
	v_cmp_eq_u32_e32 vcc, 0, v0
	s_and_saveexec_b64 s[8:9], vcc
	s_cbranch_execz .LBB2_206
; %bb.194:
	s_mov_b64 s[12:13], exec
	v_mbcnt_lo_u32_b32 v0, s12, 0
	v_mbcnt_hi_u32_b32 v0, s13, v0
	v_cmp_eq_u32_e32 vcc, 0, v0
	s_waitcnt lgkmcnt(0)
	buffer_wbinvl1_vol
	s_and_saveexec_b64 s[10:11], vcc
	s_cbranch_execz .LBB2_196
; %bb.195:
	s_bcnt1_i32_b64 s12, s[12:13]
	v_mov_b32_e32 v0, s12
	v_mov_b32_e32 v1, 0
	ds_add_u64 v0, v[0:1]
	s_trap 2
.LBB2_196:
	s_or_b64 exec, exec, s[10:11]
	v_ashrrev_i32_e32 v0, 31, v20
	v_lshrrev_b32_e32 v0, 26, v0
	v_add_u32_e32 v0, v20, v0
	v_ashrrev_i32_e32 v0, 6, v0
	s_trap 2
	ds_read_b64 v[2:3], v0
	v_ashrrev_i32_e32 v1, 31, v0
	v_add_co_u32_e32 v0, vcc, v42, v0
	v_addc_co_u32_e32 v1, vcc, v43, v1, vcc
	s_waitcnt lgkmcnt(0)
	v_cmp_lt_u64_e32 vcc, v[2:3], v[0:1]
	s_and_saveexec_b64 s[10:11], vcc
	s_cbranch_execz .LBB2_205
; %bb.197:
	s_mov_b32 s24, 0
	s_mov_b64 s[12:13], 0
                                        ; implicit-def: $sgpr14_sgpr15
                                        ; implicit-def: $sgpr16_sgpr17
	s_branch .LBB2_199
.LBB2_198:                              ;   in Loop: Header=BB2_199 Depth=1
	s_or_b64 exec, exec, s[22:23]
	s_and_b64 s[18:19], exec, s[20:21]
	s_or_b64 s[12:13], s[18:19], s[12:13]
	s_andn2_b64 s[14:15], s[14:15], exec
	s_and_b64 s[18:19], s[16:17], exec
	s_or_b64 s[14:15], s[14:15], s[18:19]
	s_andn2_b64 exec, exec, s[12:13]
	s_cbranch_execz .LBB2_203
.LBB2_199:                              ; =>This Inner Loop Header: Depth=1
	s_add_i32 s24, s24, 1
	s_cmpk_lg_i32 s24, 0x2710
	s_cselect_b64 s[18:19], -1, 0
	s_and_b64 vcc, exec, s[18:19]
                                        ; implicit-def: $sgpr22_sgpr23
	s_cbranch_vccnz .LBB2_201
; %bb.200:                              ;   in Loop: Header=BB2_199 Depth=1
	s_trap 2
	ds_read_b64 v[2:3], v0
	s_andn2_b64 s[18:19], s[18:19], exec
	s_mov_b32 s24, 0
	s_mov_b64 s[22:23], -1
	s_waitcnt lgkmcnt(0)
	flat_load_dword v2, v[2:3] glc
	s_waitcnt vmcnt(0) lgkmcnt(0)
	buffer_invl2
	buffer_wbinvl1_vol
	v_cmp_eq_u32_e32 vcc, 0, v2
	s_and_b64 s[20:21], vcc, exec
	s_or_b64 s[18:19], s[18:19], s[20:21]
.LBB2_201:                              ;   in Loop: Header=BB2_199 Depth=1
	s_andn2_b64 s[16:17], s[16:17], exec
	s_and_b64 s[22:23], s[22:23], exec
	s_mov_b64 s[20:21], -1
	s_or_b64 s[16:17], s[16:17], s[22:23]
	s_and_saveexec_b64 s[22:23], s[18:19]
	s_cbranch_execz .LBB2_198
; %bb.202:                              ;   in Loop: Header=BB2_199 Depth=1
	s_sleep 1
	s_trap 2
	ds_read_b64 v[2:3], v0
	s_andn2_b64 s[16:17], s[16:17], exec
	s_waitcnt lgkmcnt(0)
	v_cmp_ge_u64_e32 vcc, v[2:3], v[0:1]
	s_orn2_b64 s[20:21], vcc, exec
	s_branch .LBB2_198
.LBB2_203:
	s_or_b64 exec, exec, s[12:13]
	s_and_saveexec_b64 s[12:13], s[14:15]
	s_xor_b64 s[12:13], exec, s[12:13]
	s_cbranch_execz .LBB2_205
; %bb.204:
	v_mov_b32_e32 v0, 1
	ds_write_b32 v0, v0
	s_trap 2
.LBB2_205:
	s_or_b64 exec, exec, s[10:11]
	;;#ASMSTART
	s_wakeup
	;;#ASMEND
.LBB2_206:
	s_or_b64 exec, exec, s[8:9]
.LBB2_207:
	s_andn2_saveexec_b64 s[6:7], s[6:7]
	s_cbranch_execz .LBB2_209
; %bb.208:
	s_waitcnt lgkmcnt(0)
	buffer_wbinvl1_vol
	s_barrier
.LBB2_209:
	s_or_b64 exec, exec, s[4:5]
	buffer_load_dword a43, off, s[0:3], s32 ; 4-byte Folded Reload
	buffer_load_dword a42, off, s[0:3], s32 offset:4 ; 4-byte Folded Reload
	buffer_load_dword a40, off, s[0:3], s32 offset:8 ; 4-byte Folded Reload
	;; [unrolled: 1-line block ×23, first 2 shown]
	s_waitcnt lgkmcnt(0)
	buffer_load_dword v41, off, s[0:3], s32 offset:96 ; 4-byte Folded Reload
	buffer_load_dword v40, off, s[0:3], s32 offset:100 ; 4-byte Folded Reload
	v_readlane_b32 s30, v63, 22
	v_readlane_b32 s31, v63, 23
	;; [unrolled: 1-line block ×24, first 2 shown]
	s_or_saveexec_b64 s[4:5], -1
	buffer_load_dword v63, off, s[0:3], s32 offset:104 ; 4-byte Folded Reload
	s_mov_b64 exec, s[4:5]
	s_waitcnt vmcnt(0)
	s_setpc_b64 s[30:31]
.Lfunc_end2:
	.size	_ZN12_GLOBAL__N_17runRingIm14FuncSumPostDivImE7ProtoLLLi0ELi2ELi0EEEviiP15ncclDevWorkColl, .Lfunc_end2-_ZN12_GLOBAL__N_17runRingIm14FuncSumPostDivImE7ProtoLLLi0ELi2ELi0EEEviiP15ncclDevWorkColl
                                        ; -- End function
	.section	.AMDGPU.csdata,"",@progbits
; Function info:
; codeLenInByte = 11356
; NumSgprs: 60
; NumVgprs: 64
; NumAgprs: 44
; TotalNumVgprs: 108
; ScratchSize: 112
; MemoryBound: 0
	.text
	.p2align	2                               ; -- Begin function _Z54ncclDevFunc_ReduceScatter_RING_LL_SumPostDiv_u64_0_0_2v
	.type	_Z54ncclDevFunc_ReduceScatter_RING_LL_SumPostDiv_u64_0_0_2v,@function
_Z54ncclDevFunc_ReduceScatter_RING_LL_SumPostDiv_u64_0_0_2v: ; @_Z54ncclDevFunc_ReduceScatter_RING_LL_SumPostDiv_u64_0_0_2v
; %bb.0:
	s_waitcnt vmcnt(0) expcnt(0) lgkmcnt(0)
	s_mov_b32 s4, s33
	s_mov_b32 s33, s32
	s_or_saveexec_b64 s[6:7], -1
	buffer_store_dword v42, off, s[0:3], s33 offset:12 ; 4-byte Folded Spill
	s_mov_b64 exec, s[6:7]
	v_writelane_b32 v42, s4, 32
	s_addk_i32 s32, 0x800
	buffer_store_dword v40, off, s[0:3], s33 offset:8 ; 4-byte Folded Spill
	buffer_store_dword v41, off, s[0:3], s33 offset:4 ; 4-byte Folded Spill
	buffer_store_dword v63, off, s[0:3], s33 ; 4-byte Folded Spill
	v_writelane_b32 v42, s34, 0
	v_writelane_b32 v42, s35, 1
	;; [unrolled: 1-line block ×32, first 2 shown]
	s_trap 2
	ds_read_b32 v0, v0
	v_and_b32_e32 v40, 0x3ff, v31
	s_mov_b32 s58, s12
	s_mov_b64 s[56:57], s[8:9]
	s_waitcnt lgkmcnt(0)
	v_cmp_lt_i32_e32 vcc, v40, v0
	s_and_saveexec_b64 s[4:5], vcc
	s_cbranch_execz .LBB3_5
; %bb.1:
	s_load_dword s6, s[56:57], 0x0
	v_mov_b32_e32 v1, 0
	v_mov_b32_e32 v4, v40
                                        ; implicit-def: $vgpr2
	s_waitcnt lgkmcnt(0)
	s_cmp_lt_u32 s58, s6
	s_cselect_b32 s6, 12, 18
	s_add_u32 s6, s56, s6
	s_addc_u32 s7, s57, 0
	global_load_ushort v1, v1, s[6:7]
	s_trap 2
	ds_read_b32 v3, v0
	s_mov_b64 s[6:7], 0
	s_waitcnt vmcnt(0) lgkmcnt(0)
	v_mul_lo_u32 v3, v3, v1
	s_branch .LBB3_3
.LBB3_2:                                ;   in Loop: Header=BB3_3 Depth=1
	s_or_b64 exec, exec, s[8:9]
	v_add_u32_e32 v4, v4, v1
	v_cmp_ge_i32_e32 vcc, v4, v0
	s_or_b64 s[6:7], vcc, s[6:7]
	v_add_u32_e32 v2, v2, v3
	s_andn2_b64 exec, exec, s[6:7]
	s_cbranch_execz .LBB3_5
.LBB3_3:                                ; =>This Inner Loop Header: Depth=1
	ds_read_b32 v5, v2
	s_waitcnt lgkmcnt(0)
	v_and_b32_e32 v5, 0x1000000, v5
	v_cmp_ne_u32_e32 vcc, 0, v5
	s_and_saveexec_b64 s[8:9], vcc
	s_cbranch_execz .LBB3_2
; %bb.4:                                ;   in Loop: Header=BB3_3 Depth=1
	ds_read_b64 v[6:7], v2 offset:104
	s_waitcnt lgkmcnt(0)
	flat_load_dwordx2 v[6:7], v[6:7]
	s_waitcnt vmcnt(0) lgkmcnt(0)
	ds_write_b64 v2, v[6:7] offset:104
	s_branch .LBB3_2
.LBB3_5:
	s_or_b64 exec, exec, s[4:5]
	s_waitcnt lgkmcnt(0)
	s_barrier
	s_trap 2
	ds_read_b32 v0, v0
	s_waitcnt lgkmcnt(0)
	v_cmp_gt_i32_e32 vcc, 1, v0
	s_cbranch_vccnz .LBB3_13
; %bb.6:
	s_mov_b32 s59, 0
	s_mov_b64 s[60:61], src_shared_base
	v_mov_b32_e32 v41, 6
	s_branch .LBB3_8
.LBB3_7:                                ;   in Loop: Header=BB3_8 Depth=1
	s_or_b64 exec, exec, s[62:63]
	s_trap 2
	ds_read_b32 v0, v0
	s_add_i32 s59, s59, 1
	s_waitcnt lgkmcnt(0)
	v_cmp_lt_i32_e32 vcc, s59, v0
	s_cbranch_vccz .LBB3_13
.LBB3_8:                                ; =>This Inner Loop Header: Depth=1
	s_trap 2
	ds_read_b32 v0, v0
	s_cmp_eq_u32 s59, 0
	s_cbranch_scc1 .LBB3_11
; %bb.9:                                ;   in Loop: Header=BB3_8 Depth=1
	s_trap 2
	s_waitcnt lgkmcnt(0)
	ds_read_b32 v1, v0
	s_waitcnt lgkmcnt(0)
	v_xor_b32_e32 v1, v1, v0
	v_and_b32_e32 v1, 0xff0000, v1
	v_cmp_eq_u32_e32 vcc, 0, v1
	s_cbranch_vccnz .LBB3_11
; %bb.10:                               ;   in Loop: Header=BB3_8 Depth=1
	s_barrier
	ds_read_b32 v0, v0
.LBB3_11:                               ;   in Loop: Header=BB3_8 Depth=1
	s_waitcnt lgkmcnt(0)
	v_lshlrev_b32_sdwa v1, v41, v0 dst_sel:DWORD dst_unused:UNUSED_PAD src0_sel:DWORD src1_sel:BYTE_2
	v_cmp_lt_u32_e32 vcc, v40, v1
	s_and_saveexec_b64 s[62:63], vcc
	s_cbranch_execz .LBB3_7
; %bb.12:                               ;   in Loop: Header=BB3_8 Depth=1
	s_mov_b64 s[8:9], s[56:57]
	s_mov_b32 s12, s58
	v_mov_b32_e32 v0, v40
	v_mov_b32_e32 v3, s61
	s_getpc_b64 s[4:5]
	s_add_u32 s4, s4, _ZN12_GLOBAL__N_17runRingIm14FuncSumPostDivImE7ProtoLLLi0ELi2ELi0EEEviiP15ncclDevWorkColl@rel32@lo+4
	s_addc_u32 s5, s5, _ZN12_GLOBAL__N_17runRingIm14FuncSumPostDivImE7ProtoLLLi0ELi2ELi0EEEviiP15ncclDevWorkColl@rel32@hi+12
	s_swappc_b64 s[30:31], s[4:5]
	s_branch .LBB3_7
.LBB3_13:
	buffer_load_dword v63, off, s[0:3], s33 ; 4-byte Folded Reload
	buffer_load_dword v41, off, s[0:3], s33 offset:4 ; 4-byte Folded Reload
	buffer_load_dword v40, off, s[0:3], s33 offset:8 ; 4-byte Folded Reload
	v_readlane_b32 s30, v42, 30
	v_readlane_b32 s31, v42, 31
	;; [unrolled: 1-line block ×33, first 2 shown]
	s_or_saveexec_b64 s[6:7], -1
	buffer_load_dword v42, off, s[0:3], s33 offset:12 ; 4-byte Folded Reload
	s_mov_b64 exec, s[6:7]
	s_addk_i32 s32, 0xf800
	s_mov_b32 s33, s4
	s_waitcnt vmcnt(0)
	s_setpc_b64 s[30:31]
.Lfunc_end3:
	.size	_Z54ncclDevFunc_ReduceScatter_RING_LL_SumPostDiv_u64_0_0_2v, .Lfunc_end3-_Z54ncclDevFunc_ReduceScatter_RING_LL_SumPostDiv_u64_0_0_2v
                                        ; -- End function
	.section	.AMDGPU.csdata,"",@progbits
; Function info:
; codeLenInByte = 1080
; NumSgprs: 68
; NumVgprs: 64
; NumAgprs: 44
; TotalNumVgprs: 108
; ScratchSize: 144
; MemoryBound: 0
	.text
	.p2align	2                               ; -- Begin function _ZN12_GLOBAL__N_17runRingIm14FuncSumPostDivImE7ProtoLLLi0ELi4ELi0EEEviiP15ncclDevWorkColl
	.type	_ZN12_GLOBAL__N_17runRingIm14FuncSumPostDivImE7ProtoLLLi0ELi4ELi0EEEviiP15ncclDevWorkColl,@function
_ZN12_GLOBAL__N_17runRingIm14FuncSumPostDivImE7ProtoLLLi0ELi4ELi0EEEviiP15ncclDevWorkColl: ; @_ZN12_GLOBAL__N_17runRingIm14FuncSumPostDivImE7ProtoLLLi0ELi4ELi0EEEviiP15ncclDevWorkColl
; %bb.0:
	s_waitcnt vmcnt(0) expcnt(0) lgkmcnt(0)
	s_or_saveexec_b64 s[4:5], -1
	buffer_store_dword v63, off, s[0:3], s32 offset:104 ; 4-byte Folded Spill
	s_mov_b64 exec, s[4:5]
	buffer_store_dword v40, off, s[0:3], s32 offset:100 ; 4-byte Folded Spill
	buffer_store_dword v41, off, s[0:3], s32 offset:96 ; 4-byte Folded Spill
	;; [unrolled: 1-line block ×25, first 2 shown]
	buffer_store_dword a43, off, s[0:3], s32 ; 4-byte Folded Spill
	v_writelane_b32 v63, s34, 0
	v_writelane_b32 v63, s35, 1
	;; [unrolled: 1-line block ×24, first 2 shown]
	s_trap 2
	flat_load_dword v5, v[2:3]
	flat_load_dwordx4 v[24:27], v[2:3] offset:72
	flat_load_dwordx2 v[8:9], v[2:3] offset:88
	v_mov_b32_e32 v22, v0
	ds_read_b32 v0, v0
	v_mov_b32_e32 v20, v1
                                        ; implicit-def: $vgpr10_vgpr11
                                        ; implicit-def: $agpr4_agpr5
	s_waitcnt lgkmcnt(0)
	ds_read_b64 v[36:37], v0
	v_readfirstlane_b32 s22, v0
	s_waitcnt vmcnt(0)
	v_not_b32_sdwa v1, v5 dst_sel:DWORD dst_unused:UNUSED_PAD src0_sel:BYTE_0
	v_add_u32_sdwa v4, v5, v1 dst_sel:DWORD dst_unused:UNUSED_PAD src0_sel:BYTE_1 src1_sel:DWORD
	v_ashrrev_i32_e32 v6, 31, v4
	v_mul_lo_u32 v7, v27, v4
	v_mad_u64_u32 v[18:19], s[4:5], v26, v4, 0
	v_mul_lo_u32 v4, v26, v6
	v_add3_u32 v4, v19, v4, v7
	v_cmp_ne_u32_sdwa s[4:5], v5, v0 src0_sel:BYTE_0 src1_sel:DWORD
	s_and_saveexec_b64 s[6:7], s[4:5]
	s_xor_b64 s[4:5], exec, s[6:7]
	s_cbranch_execz .LBB4_6
; %bb.1:
	v_cmp_ne_u32_sdwa s[6:7], v5, v0 src0_sel:BYTE_1 src1_sel:DWORD
                                        ; implicit-def: $vgpr10_vgpr11
                                        ; implicit-def: $agpr4_agpr5
	s_and_saveexec_b64 s[10:11], s[6:7]
	s_xor_b64 s[6:7], exec, s[10:11]
	s_cbranch_execz .LBB4_3
; %bb.2:
	flat_load_dwordx2 v[6:7], v[2:3] offset:96
	v_add_u32_e32 v0, v0, v1
	v_ashrrev_i32_e32 v1, 31, v0
	v_mul_lo_u32 v1, v26, v1
	v_mul_lo_u32 v5, v27, v0
	v_mad_u64_u32 v[10:11], s[10:11], v26, v0, v[24:25]
	v_add3_u32 v11, v5, v11, v1
	v_accvgpr_write_b32 a4, v10
	v_accvgpr_write_b32 a5, v11
	s_waitcnt vmcnt(0) lgkmcnt(0)
	v_lshrrev_b64 v[10:11], 20, v[6:7]
.LBB4_3:
	s_andn2_saveexec_b64 s[6:7], s[6:7]
	s_cbranch_execz .LBB4_5
; %bb.4:
	flat_load_dword v0, v[2:3] offset:100
	v_add_co_u32_e32 v6, vcc, v18, v24
	v_addc_co_u32_e32 v7, vcc, v4, v25, vcc
	v_accvgpr_write_b32 a4, v6
	v_accvgpr_write_b32 a5, v7
	v_pk_mov_b32 v[26:27], v[8:9], v[8:9] op_sel:[0,1]
	s_waitcnt vmcnt(0) lgkmcnt(0)
	v_lshrrev_b32_e32 v10, 9, v0
.LBB4_5:
	s_or_b64 exec, exec, s[6:7]
.LBB4_6:
	s_andn2_saveexec_b64 s[4:5], s[4:5]
	s_cbranch_execz .LBB4_8
; %bb.7:
	flat_load_dwordx2 v[0:1], v[2:3] offset:96
	v_pk_mov_b32 v[6:7], 0, 0
	v_accvgpr_write_b32 a4, v6
	v_accvgpr_write_b32 a5, v7
	v_pk_mov_b32 v[26:27], v[24:25], v[24:25] op_sel:[0,1]
	s_waitcnt vmcnt(0) lgkmcnt(0)
	v_lshlrev_b64 v[10:11], 1, v[0:1]
.LBB4_8:
	s_or_b64 exec, exec, s[4:5]
	flat_load_dword v0, v[2:3] offset:104
	flat_load_dwordx4 a[6:9], v[2:3] offset:16
	flat_load_ushort v13, v[2:3] offset:8
	flat_load_dword v12, v[2:3] offset:4
	v_mov_b32_e32 v61, 0
	s_mov_b32 s6, 0
	v_pk_mov_b32 v[28:29], -1, -1
	s_waitcnt vmcnt(0) lgkmcnt(0)
	v_alignbit_b32 v5, v0, v0, 1
	v_and_b32_e32 v60, 0x7fffffff, v5
	v_cmp_ne_u32_e32 vcc, 0, v60
	s_and_saveexec_b64 s[4:5], vcc
	s_cbranch_execz .LBB4_10
; %bb.9:
	v_cmp_eq_u32_e32 vcc, 1, v60
	v_cndmask_b32_e64 v0, 0, 1, vcc
	v_lshlrev_b32_e32 v2, 31, v0
	v_cndmask_b32_e64 v0, 3, 1, vcc
	v_mov_b32_e32 v1, v61
	v_cmp_ge_u64_e32 vcc, v[0:1], v[60:61]
	v_cndmask_b32_e64 v3, 0, 1, vcc
	v_cmp_lt_u64_e32 vcc, v[0:1], v[60:61]
	v_cndmask_b32_e64 v1, v60, 0, vcc
	v_sub_co_u32_e32 v0, vcc, v0, v1
	v_subb_co_u32_e64 v1, s[10:11], 0, 0, vcc
	v_lshlrev_b64 v[0:1], 1, v[0:1]
	v_or_b32_e32 v0, 1, v0
	v_lshlrev_b32_e32 v3, 30, v3
	v_cmp_ge_u64_e32 vcc, v[0:1], v[60:61]
	v_or_b32_e32 v2, v3, v2
	v_cndmask_b32_e64 v3, 0, 1, vcc
	v_cmp_lt_u64_e32 vcc, v[0:1], v[60:61]
	v_cndmask_b32_e64 v6, v60, 0, vcc
	v_sub_co_u32_e32 v0, vcc, v0, v6
	v_subbrev_co_u32_e32 v1, vcc, 0, v1, vcc
	v_lshlrev_b64 v[0:1], 1, v[0:1]
	v_or_b32_e32 v0, 1, v0
	v_cmp_ge_u64_e32 vcc, v[0:1], v[60:61]
	v_cndmask_b32_e64 v6, 0, 1, vcc
	v_lshlrev_b32_e32 v3, 29, v3
	v_lshlrev_b32_e32 v6, 28, v6
	v_cmp_lt_u64_e32 vcc, v[0:1], v[60:61]
	v_or3_b32 v2, v2, v3, v6
	v_cndmask_b32_e64 v3, v60, 0, vcc
	v_sub_co_u32_e32 v0, vcc, v0, v3
	v_subbrev_co_u32_e32 v1, vcc, 0, v1, vcc
	v_lshlrev_b64 v[0:1], 1, v[0:1]
	v_or_b32_e32 v0, 1, v0
	v_cmp_ge_u64_e32 vcc, v[0:1], v[60:61]
	v_cndmask_b32_e64 v3, 0, 1, vcc
	v_cmp_lt_u64_e32 vcc, v[0:1], v[60:61]
	v_cndmask_b32_e64 v6, v60, 0, vcc
	v_sub_co_u32_e32 v0, vcc, v0, v6
	v_subbrev_co_u32_e32 v1, vcc, 0, v1, vcc
	v_lshlrev_b64 v[0:1], 1, v[0:1]
	v_or_b32_e32 v0, 1, v0
	v_cmp_ge_u64_e32 vcc, v[0:1], v[60:61]
	v_cndmask_b32_e64 v6, 0, 1, vcc
	v_lshlrev_b32_e32 v3, 27, v3
	v_lshlrev_b32_e32 v6, 26, v6
	v_cmp_lt_u64_e32 vcc, v[0:1], v[60:61]
	v_or3_b32 v2, v2, v3, v6
	v_cndmask_b32_e64 v3, v60, 0, vcc
	v_sub_co_u32_e32 v0, vcc, v0, v3
	v_subbrev_co_u32_e32 v1, vcc, 0, v1, vcc
	v_lshlrev_b64 v[0:1], 1, v[0:1]
	v_or_b32_e32 v0, 1, v0
	v_cmp_ge_u64_e32 vcc, v[0:1], v[60:61]
	;; [unrolled: 19-line block ×14, first 2 shown]
	v_cndmask_b32_e64 v3, 0, 1, vcc
	v_cmp_lt_u64_e32 vcc, v[0:1], v[60:61]
	v_cndmask_b32_e64 v6, v60, 0, vcc
	v_sub_co_u32_e32 v0, vcc, v0, v6
	v_subbrev_co_u32_e32 v1, vcc, 0, v1, vcc
	v_lshlrev_b64 v[0:1], 1, v[0:1]
	v_or_b32_e32 v0, 1, v0
	v_cmp_ge_u64_e32 vcc, v[0:1], v[60:61]
	v_lshlrev_b32_e32 v3, 1, v3
	v_cndmask_b32_e64 v6, 0, 1, vcc
	v_cmp_lt_u64_e32 vcc, v[0:1], v[60:61]
	v_or3_b32 v29, v2, v3, v6
	v_cndmask_b32_e64 v2, v60, 0, vcc
	v_sub_co_u32_e32 v0, vcc, v0, v2
	v_subbrev_co_u32_e32 v1, vcc, 0, v1, vcc
	v_lshlrev_b64 v[0:1], 1, v[0:1]
	v_or_b32_e32 v0, 1, v0
	v_cmp_ge_u64_e32 vcc, v[0:1], v[60:61]
	v_cndmask_b32_e64 v2, 0, 1, vcc
	v_cmp_lt_u64_e32 vcc, v[0:1], v[60:61]
	v_cndmask_b32_e64 v3, v60, 0, vcc
	v_sub_co_u32_e32 v0, vcc, v0, v3
	v_subbrev_co_u32_e32 v1, vcc, 0, v1, vcc
	v_lshlrev_b64 v[0:1], 1, v[0:1]
	v_or_b32_e32 v0, 1, v0
	v_cmp_ge_u64_e32 vcc, v[0:1], v[60:61]
	v_cndmask_b32_e64 v3, 0, 1, vcc
	v_cmp_lt_u64_e32 vcc, v[0:1], v[60:61]
	v_cndmask_b32_e64 v6, v60, 0, vcc
	v_sub_co_u32_e32 v0, vcc, v0, v6
	v_subbrev_co_u32_e32 v1, vcc, 0, v1, vcc
	v_lshlrev_b64 v[0:1], 1, v[0:1]
	v_or_b32_e32 v0, 1, v0
	v_cmp_ge_u64_e32 vcc, v[0:1], v[60:61]
	v_cndmask_b32_e64 v6, 0, 1, vcc
	v_lshlrev_b32_e32 v2, 31, v2
	v_lshlrev_b32_e32 v3, 30, v3
	;; [unrolled: 1-line block ×3, first 2 shown]
	v_cmp_lt_u64_e32 vcc, v[0:1], v[60:61]
	v_or3_b32 v2, v2, v3, v6
	v_cndmask_b32_e64 v3, v60, 0, vcc
	v_sub_co_u32_e32 v0, vcc, v0, v3
	v_subbrev_co_u32_e32 v1, vcc, 0, v1, vcc
	v_lshlrev_b64 v[0:1], 1, v[0:1]
	v_or_b32_e32 v0, 1, v0
	v_cmp_ge_u64_e32 vcc, v[0:1], v[60:61]
	v_cndmask_b32_e64 v3, 0, 1, vcc
	v_cmp_lt_u64_e32 vcc, v[0:1], v[60:61]
	v_cndmask_b32_e64 v6, v60, 0, vcc
	v_sub_co_u32_e32 v0, vcc, v0, v6
	v_subbrev_co_u32_e32 v1, vcc, 0, v1, vcc
	v_lshlrev_b64 v[0:1], 1, v[0:1]
	v_or_b32_e32 v0, 1, v0
	v_cmp_ge_u64_e32 vcc, v[0:1], v[60:61]
	v_cndmask_b32_e64 v6, 0, 1, vcc
	v_lshlrev_b32_e32 v3, 28, v3
	v_lshlrev_b32_e32 v6, 27, v6
	v_cmp_lt_u64_e32 vcc, v[0:1], v[60:61]
	v_or3_b32 v2, v2, v3, v6
	v_cndmask_b32_e64 v3, v60, 0, vcc
	v_sub_co_u32_e32 v0, vcc, v0, v3
	v_subbrev_co_u32_e32 v1, vcc, 0, v1, vcc
	v_lshlrev_b64 v[0:1], 1, v[0:1]
	v_or_b32_e32 v0, 1, v0
	v_cmp_ge_u64_e32 vcc, v[0:1], v[60:61]
	v_cndmask_b32_e64 v3, 0, 1, vcc
	v_cmp_lt_u64_e32 vcc, v[0:1], v[60:61]
	v_cndmask_b32_e64 v6, v60, 0, vcc
	v_sub_co_u32_e32 v0, vcc, v0, v6
	v_subbrev_co_u32_e32 v1, vcc, 0, v1, vcc
	v_lshlrev_b64 v[0:1], 1, v[0:1]
	v_or_b32_e32 v0, 1, v0
	v_cmp_ge_u64_e32 vcc, v[0:1], v[60:61]
	v_cndmask_b32_e64 v6, 0, 1, vcc
	v_lshlrev_b32_e32 v3, 26, v3
	v_lshlrev_b32_e32 v6, 25, v6
	;; [unrolled: 19-line block ×14, first 2 shown]
	v_cmp_lt_u64_e32 vcc, v[0:1], v[60:61]
	v_or3_b32 v2, v2, v3, v6
	v_cndmask_b32_e64 v3, v60, 0, vcc
	v_sub_co_u32_e32 v0, vcc, v0, v3
	v_subbrev_co_u32_e32 v1, vcc, 0, v1, vcc
	v_lshlrev_b64 v[0:1], 1, v[0:1]
	v_or_b32_e32 v0, 1, v0
	v_cmp_ge_u64_e32 vcc, v[0:1], v[60:61]
	v_cndmask_b32_e64 v0, 0, 1, vcc
	v_or_b32_e32 v28, v2, v0
.LBB4_10:
	s_or_b64 exec, exec, s[4:5]
	s_load_dword s4, s[8:9], 0x0
	v_lshrrev_b64 v[2:3], 31, v[12:13]
	v_and_b32_e32 v6, 63, v22
	v_and_b32_e32 v7, 3, v2
	v_pk_mov_b32 v[32:33], 0, 0
	s_waitcnt lgkmcnt(0)
	s_cmp_lt_u32 s12, s4
	s_cselect_b32 s4, 12, 18
	s_add_u32 s4, s8, s4
	s_addc_u32 s5, s9, 0
	global_load_ushort v59, v61, s[4:5]
	s_trap 2
	ds_read_b32 v0, v0
	v_cmp_eq_u32_e64 s[4:5], 0, v6
	s_waitcnt lgkmcnt(0)
	v_cmp_gt_i32_e32 vcc, 0, v0
	s_cbranch_vccnz .LBB4_12
; %bb.11:
	s_trap 2
	ds_read_b64 v[2:3], v0
	v_mov_b32_e32 v1, 0
	v_lshlrev_b64 v[12:13], 3, v[0:1]
	v_and_b32_e32 v1, 0xffff, v7
	s_movk_i32 s6, 0xa8
	s_waitcnt lgkmcnt(0)
	v_add_co_u32_e32 v2, vcc, v2, v12
	v_addc_co_u32_e32 v3, vcc, v3, v13, vcc
	flat_load_dwordx2 v[2:3], v[2:3]
	s_waitcnt vmcnt(0) lgkmcnt(0)
	v_mad_u64_u32 v[2:3], s[6:7], v1, s6, v[2:3]
	flat_load_dwordx2 a[14:15], v[2:3] offset:504
	flat_load_dwordx2 v[38:39], v[2:3] offset:608
	v_add_co_u32_e32 v1, vcc, 0x1f8, v2
	v_addc_co_u32_e32 v2, vcc, 0, v3, vcc
	v_cndmask_b32_e64 v35, 0, v2, s[4:5]
	v_cndmask_b32_e64 v34, 0, v1, s[4:5]
	s_mov_b32 s6, 1
	s_branch .LBB4_13
.LBB4_12:
	v_pk_mov_b32 v[34:35], v[32:33], v[32:33] op_sel:[0,1]
                                        ; implicit-def: $vgpr38_vgpr39
                                        ; implicit-def: $agpr14_agpr15
.LBB4_13:
	s_trap 2
	ds_read_b32 v2, v0
	s_waitcnt lgkmcnt(0)
	v_cmp_gt_i32_e32 vcc, 0, v2
	s_cbranch_vccnz .LBB4_15
; %bb.14:
	s_trap 2
	ds_read_b64 v[12:13], v0
	v_mov_b32_e32 v3, 0
	v_lshlrev_b64 v[2:3], 3, v[2:3]
	v_and_b32_e32 v1, 0xffff, v7
	s_movk_i32 s4, 0xa8
	s_waitcnt lgkmcnt(0)
	v_add_co_u32_e32 v2, vcc, v12, v2
	v_addc_co_u32_e32 v3, vcc, v13, v3, vcc
	flat_load_dwordx2 v[2:3], v[2:3]
	v_cmp_eq_u32_e32 vcc, 0, v6
	s_waitcnt vmcnt(0) lgkmcnt(0)
	v_mad_u64_u32 v[2:3], s[4:5], v1, s4, v[2:3]
	flat_load_dwordx2 v[48:49], v[2:3]
	flat_load_dwordx2 v[16:17], v[2:3] offset:104
	v_cndmask_b32_e32 v33, 0, v3, vcc
	v_cndmask_b32_e32 v32, 0, v2, vcc
	s_branch .LBB4_16
.LBB4_15:
                                        ; implicit-def: $vgpr16_vgpr17
                                        ; implicit-def: $vgpr48_vgpr49
.LBB4_16:
	v_subrev_u32_e32 v1, 64, v20
	v_pk_mov_b32 v[12:13], 0, 0
	v_cmp_le_i32_e32 vcc, v1, v22
	v_cmp_gt_u32_e64 s[4:5], s6, v6
	v_accvgpr_write_b32 a17, v13
	s_and_b64 s[24:25], vcc, s[4:5]
	v_accvgpr_write_b32 a16, v12
                                        ; implicit-def: $vgpr50_vgpr51
	s_and_saveexec_b64 s[4:5], s[24:25]
	s_cbranch_execz .LBB4_18
; %bb.17:
	flat_load_dwordx2 a[16:17], v[34:35] offset:56
	flat_load_dwordx2 v[50:51], v[34:35] offset:104
.LBB4_18:
	s_or_b64 exec, exec, s[4:5]
	v_cmp_gt_i32_e64 s[4:5], s6, v22
	v_pk_mov_b32 v[54:55], v[12:13], v[12:13] op_sel:[0,1]
                                        ; implicit-def: $vgpr40_vgpr41
	s_and_saveexec_b64 s[6:7], s[4:5]
	s_cbranch_execz .LBB4_20
; %bb.19:
	flat_load_dwordx2 v[54:55], v[32:33] offset:56
	s_waitcnt vmcnt(0) lgkmcnt(0)
	flat_load_dwordx2 v[40:41], v[54:55] glc
	s_waitcnt vmcnt(0)
	flat_load_dwordx4 v[12:15], v[32:33] offset:96
.LBB4_20:
	s_or_b64 exec, exec, s[6:7]
	v_cmp_ne_u64_e32 vcc, 0, v[26:27]
	v_pk_mov_b32 v[42:43], 0, 0
	s_and_saveexec_b64 s[26:27], vcc
	s_cbranch_execz .LBB4_186
; %bb.21:
	v_ashrrev_i32_e32 v1, 31, v0
	v_lshrrev_b32_e32 v1, 29, v1
	v_add_u32_e32 v0, v0, v1
	v_ashrrev_i32_e32 v62, 7, v0
	v_add_co_u32_e32 v0, vcc, v8, v24
	v_addc_co_u32_e32 v1, vcc, v9, v25, vcc
	v_add_co_u32_e32 v56, vcc, v0, v18
	s_ashr_i32 s23, s22, 31
	v_addc_co_u32_e32 v57, vcc, v1, v4, vcc
	s_lshl_b64 s[6:7], s[22:23], 2
	v_mov_b32_e32 v0, s7
	v_add_co_u32_e32 v1, vcc, s6, v36
	v_addc_co_u32_e32 v0, vcc, v37, v0, vcc
	v_add_co_u32_e32 v2, vcc, -4, v1
	v_addc_co_u32_e32 v3, vcc, -1, v0, vcc
	v_and_b32_e32 v0, 63, v31
	v_ashrrev_i32_e32 v21, 31, v20
	v_cmp_eq_u32_e64 s[12:13], 0, v0
	v_lshrrev_b32_e32 v0, 26, v21
	v_add_u32_e32 v0, v20, v0
	v_ashrrev_i32_e32 v0, 6, v0
	v_accvgpr_write_b32 a21, v3
	v_ashrrev_i32_e32 v1, 31, v0
	v_accvgpr_write_b32 a20, v2
	v_accvgpr_write_b32 a22, v0
	;; [unrolled: 1-line block ×3, first 2 shown]
	v_ashrrev_i32_e32 v23, 31, v22
	v_accvgpr_read_b32 v0, a6
	v_lshlrev_b64 v[18:19], 3, v[22:23]
	v_accvgpr_read_b32 v2, a8
	v_accvgpr_read_b32 v3, a9
	v_add_co_u32_e32 v4, vcc, v2, v18
	v_accvgpr_write_b32 a26, v4
	v_addc_co_u32_e32 v4, vcc, v3, v19, vcc
	v_accvgpr_read_b32 v1, a7
	v_accvgpr_write_b32 a27, v4
	v_add_co_u32_e32 v4, vcc, v0, v18
	v_addc_co_u32_e32 v1, vcc, v1, v19, vcc
	v_accvgpr_write_b32 a29, v1
	v_and_b32_e32 v46, 7, v0
	v_accvgpr_read_b32 v0, a4
	v_mov_b32_e32 v47, 0
	v_accvgpr_read_b32 v1, a5
	v_cmp_eq_u64_e32 vcc, 0, v[46:47]
	v_lshlrev_b64 v[0:1], 3, v[0:1]
	v_cndmask_b32_e64 v53, 0, 1, vcc
	v_add_co_u32_e32 v0, vcc, v0, v18
	v_addc_co_u32_e32 v1, vcc, v1, v19, vcc
	v_add_co_u32_e32 v0, vcc, v2, v0
	v_addc_co_u32_e32 v1, vcc, v3, v1, vcc
	v_accvgpr_write_b32 a33, v1
	v_accvgpr_write_b32 a32, v0
	v_lshlrev_b32_e32 v0, 3, v10
	v_and_b32_e32 v0, 0x1fffff0, v0
	v_accvgpr_write_b32 a34, v0
	v_lshlrev_b64 v[0:1], 4, v[22:23]
	s_waitcnt vmcnt(0) lgkmcnt(0)
	v_add_co_u32_e32 v0, vcc, v48, v0
	v_accvgpr_write_b32 a10, v32
	v_accvgpr_write_b32 a31, v0
	v_addc_co_u32_e32 v0, vcc, v49, v1, vcc
	v_accvgpr_write_b32 a11, v33
	v_and_b32_e32 v32, 0x3ffffe, v10
	v_accvgpr_read_b32 v6, a16
	v_accvgpr_write_b32 a35, v0
	v_lshlrev_b64 v[0:1], 3, v[56:57]
	v_accvgpr_write_b32 a12, v34
	v_mov_b32_e32 v33, v47
	s_cmp_gt_i32 s22, 2
	v_accvgpr_read_b32 v7, a17
	v_accvgpr_write_b32 a25, v19
	v_accvgpr_write_b32 a37, v1
	v_pk_mov_b32 v[44:45], 0, 0
	v_accvgpr_write_b32 a18, v32
	v_accvgpr_write_b32 a13, v35
	s_mov_b64 s[28:29], 0
	v_cmp_ne_u64_e64 s[6:7], 0, v[54:55]
	v_cmp_ne_u64_e64 s[8:9], 0, v[12:13]
	v_cmp_ne_u32_e64 s[10:11], 64, v20
	v_cmp_ne_u32_sdwa s[30:31], v59, v20 src0_sel:WORD_0 src1_sel:DWORD
	s_cselect_b64 s[34:35], -1, 0
	v_cmp_ne_u64_e64 s[14:15], 0, v[6:7]
	v_accvgpr_write_b32 a28, v4
	v_cmp_gt_i32_e64 s[16:17], 0, v5
	v_mov_b32_e32 v8, v29
	v_accvgpr_write_b32 a24, v18
	s_movk_i32 s23, 0x2710
	s_mov_b64 s[36:37], 0x7ffffff8
	v_mov_b32_e32 v58, 0
	v_accvgpr_write_b32 a36, v0
	v_lshlrev_b64 v[34:35], 3, v[20:21]
	v_lshlrev_b64 v[10:11], 4, v[20:21]
	v_pk_mov_b32 v[42:43], v[44:45], v[44:45] op_sel:[0,1]
	v_mov_b32_e32 v30, v22
	v_accvgpr_write_b32 a19, v33
	s_branch .LBB4_23
.LBB4_22:                               ;   in Loop: Header=BB4_23 Depth=1
	s_or_b64 exec, exec, s[18:19]
	v_add_co_u32_e32 v38, vcc, 1, v38
	v_addc_co_u32_e32 v39, vcc, 0, v39, vcc
	v_add_co_u32_e32 v44, vcc, v44, v32
	v_accvgpr_read_b32 v27, a3
	v_addc_co_u32_e32 v45, vcc, 0, v45, vcc
	v_accvgpr_read_b32 v26, a2
	v_cmp_ge_u64_e32 vcc, v[44:45], v[26:27]
	v_accvgpr_read_b32 v0, a32
	s_waitcnt vmcnt(0) lgkmcnt(0)
	v_accvgpr_read_b32 v2, a34
	s_or_b64 s[28:29], vcc, s[28:29]
	v_accvgpr_read_b32 v1, a33
	v_add_co_u32_e32 v0, vcc, v0, v2
	v_addc_co_u32_e32 v1, vcc, 0, v1, vcc
	v_accvgpr_write_b32 a33, v1
	v_accvgpr_write_b32 a32, v0
	s_andn2_b64 exec, exec, s[28:29]
	s_cbranch_execz .LBB4_185
.LBB4_23:                               ; =>This Loop Header: Depth=1
                                        ;     Child Loop BB4_30 Depth 2
                                        ;     Child Loop BB4_47 Depth 2
                                        ;     Child Loop BB4_60 Depth 2
                                        ;     Child Loop BB4_64 Depth 2
                                        ;     Child Loop BB4_68 Depth 2
                                        ;       Child Loop BB4_83 Depth 3
                                        ;       Child Loop BB4_99 Depth 3
	;; [unrolled: 1-line block ×3, first 2 shown]
                                        ;         Child Loop BB4_118 Depth 4
                                        ;       Child Loop BB4_132 Depth 3
                                        ;       Child Loop BB4_76 Depth 3
                                        ;     Child Loop BB4_147 Depth 2
                                        ;       Child Loop BB4_151 Depth 3
                                        ;     Child Loop BB4_173 Depth 2
	v_accvgpr_read_b32 v0, a20
	v_accvgpr_read_b32 v1, a21
	flat_load_dword v2, v[0:1]
	v_sub_co_u32_e32 v0, vcc, v26, v44
	v_subb_co_u32_e32 v1, vcc, v27, v45, vcc
	v_cmp_lt_u64_e32 vcc, v[32:33], v[0:1]
	v_accvgpr_write_b32 a2, v26
	v_cndmask_b32_e32 v0, v0, v32, vcc
	v_accvgpr_write_b32 a3, v27
	v_accvgpr_write_b32 a40, v0
	s_and_saveexec_b64 s[18:19], s[6:7]
	s_cbranch_execz .LBB4_39
; %bb.24:                               ;   in Loop: Header=BB4_23 Depth=1
	v_add_co_u32_e32 v0, vcc, 1, v14
	v_addc_co_u32_e32 v1, vcc, 0, v15, vcc
	v_add_co_u32_e32 v4, vcc, 8, v40
	v_addc_co_u32_e32 v5, vcc, 0, v41, vcc
	v_cmp_lt_u64_e32 vcc, v[4:5], v[0:1]
	s_and_saveexec_b64 s[20:21], vcc
	s_cbranch_execz .LBB4_36
; %bb.25:                               ;   in Loop: Header=BB4_23 Depth=1
	s_sleep 1
	flat_load_dwordx2 v[40:41], v[54:55] glc
	v_cmp_eq_u32_e32 vcc, 0, v58
	s_and_saveexec_b64 s[38:39], vcc
	s_cbranch_execz .LBB4_35
; %bb.26:                               ;   in Loop: Header=BB4_23 Depth=1
	v_cndmask_b32_e64 v3, 0, 1, vcc
	s_mov_b64 s[40:41], 0
                                        ; implicit-def: $sgpr42_sgpr43
	s_branch .LBB4_30
.LBB4_27:                               ;   in Loop: Header=BB4_30 Depth=2
	s_or_b64 exec, exec, s[50:51]
	s_orn2_b64 s[48:49], s[48:49], exec
.LBB4_28:                               ;   in Loop: Header=BB4_30 Depth=2
	s_or_b64 exec, exec, s[46:47]
	s_xor_b64 vcc, s[48:49], -1
	s_andn2_b64 s[42:43], s[42:43], exec
	s_and_b64 vcc, vcc, exec
	s_or_b64 s[42:43], s[42:43], vcc
.LBB4_29:                               ;   in Loop: Header=BB4_30 Depth=2
	s_or_b64 exec, exec, s[44:45]
	s_and_b64 vcc, exec, s[42:43]
	s_or_b64 s[40:41], vcc, s[40:41]
	s_andn2_b64 exec, exec, s[40:41]
	s_cbranch_execz .LBB4_34
.LBB4_30:                               ;   Parent Loop BB4_23 Depth=1
                                        ; =>  This Inner Loop Header: Depth=2
	s_waitcnt vmcnt(0) lgkmcnt(0)
	v_add_co_u32_e32 v4, vcc, 8, v40
	v_addc_co_u32_e32 v5, vcc, 0, v41, vcc
	v_cmp_lt_u64_e32 vcc, v[4:5], v[0:1]
	v_mov_b32_e32 v58, 0
	s_or_b64 s[42:43], s[42:43], exec
	s_and_saveexec_b64 s[44:45], vcc
	s_cbranch_execz .LBB4_29
; %bb.31:                               ;   in Loop: Header=BB4_30 Depth=2
	s_sleep 1
	flat_load_dwordx2 v[40:41], v[54:55] glc
	v_add_u32_e32 v3, 1, v3
	v_cmp_eq_u32_e32 vcc, s23, v3
	s_mov_b64 s[48:49], -1
	v_mov_b32_e32 v58, 0
	s_and_saveexec_b64 s[46:47], vcc
	s_cbranch_execz .LBB4_28
; %bb.32:                               ;   in Loop: Header=BB4_30 Depth=2
	s_trap 2
	ds_read_b64 v[4:5], v0
	v_mov_b32_e32 v3, 0
	v_mov_b32_e32 v58, 0
	s_waitcnt vmcnt(0) lgkmcnt(0)
	flat_load_dword v4, v[4:5] glc
	s_waitcnt vmcnt(0) lgkmcnt(0)
	buffer_invl2
	buffer_wbinvl1_vol
	v_cmp_ne_u32_e32 vcc, 0, v4
	s_and_saveexec_b64 s[50:51], vcc
	s_cbranch_execz .LBB4_27
; %bb.33:                               ;   in Loop: Header=BB4_30 Depth=2
	v_mov_b32_e32 v58, 1
	s_xor_b64 s[48:49], exec, -1
	ds_write_b32 v0, v4
	s_trap 2
	s_branch .LBB4_27
.LBB4_34:                               ;   in Loop: Header=BB4_23 Depth=1
	s_or_b64 exec, exec, s[40:41]
.LBB4_35:                               ;   in Loop: Header=BB4_23 Depth=1
	s_or_b64 exec, exec, s[38:39]
.LBB4_36:                               ;   in Loop: Header=BB4_23 Depth=1
	s_or_b64 exec, exec, s[20:21]
	s_and_saveexec_b64 s[20:21], s[8:9]
	s_cbranch_execz .LBB4_38
; %bb.37:                               ;   in Loop: Header=BB4_23 Depth=1
	v_and_b32_e32 v46, 0x7ffffff8, v14
	v_cmp_eq_u64_e32 vcc, s[36:37], v[46:47]
	v_accvgpr_read_b32 v3, a40
	v_cndmask_b32_e32 v3, v3, v62, vcc
	v_lshlrev_b32_e32 v4, 4, v3
	v_and_b32_e32 v3, 7, v14
	v_ashrrev_i32_e32 v5, 31, v4
	v_mad_u64_u32 v[6:7], vcc, v3, 24, v[12:13]
	flat_store_dwordx2 v[6:7], v[4:5] offset:8
	s_waitcnt vmcnt(0)
.LBB4_38:                               ;   in Loop: Header=BB4_23 Depth=1
	s_or_b64 exec, exec, s[20:21]
	v_pk_mov_b32 v[14:15], v[0:1], v[0:1] op_sel:[0,1]
.LBB4_39:                               ;   in Loop: Header=BB4_23 Depth=1
	s_or_b64 exec, exec, s[18:19]
	s_and_saveexec_b64 s[18:19], s[10:11]
	s_cbranch_execz .LBB4_58
; %bb.40:                               ;   in Loop: Header=BB4_23 Depth=1
	s_and_saveexec_b64 s[20:21], s[30:31]
	s_xor_b64 s[20:21], exec, s[20:21]
	s_cbranch_execz .LBB4_55
; %bb.41:                               ;   in Loop: Header=BB4_23 Depth=1
	s_and_saveexec_b64 s[38:39], s[12:13]
	s_cbranch_execz .LBB4_54
; %bb.42:                               ;   in Loop: Header=BB4_23 Depth=1
	s_mov_b64 s[42:43], exec
	v_mbcnt_lo_u32_b32 v0, s42, 0
	v_mbcnt_hi_u32_b32 v0, s43, v0
	v_cmp_eq_u32_e32 vcc, 0, v0
	s_waitcnt vmcnt(0) lgkmcnt(0)
	buffer_wbinvl1_vol
	s_and_saveexec_b64 s[40:41], vcc
	s_cbranch_execz .LBB4_44
; %bb.43:                               ;   in Loop: Header=BB4_23 Depth=1
	s_bcnt1_i32_b64 vcc_lo, s[42:43]
	v_mov_b32_e32 v46, vcc_lo
	ds_add_u64 v0, v[46:47]
	s_trap 2
.LBB4_44:                               ;   in Loop: Header=BB4_23 Depth=1
	s_or_b64 exec, exec, s[40:41]
	s_trap 2
	ds_read_b64 v[0:1], v0
	v_accvgpr_read_b32 v4, a22
	v_add_co_u32_e32 v42, vcc, v42, v4
	v_accvgpr_read_b32 v3, a23
	v_addc_co_u32_e32 v43, vcc, v43, v3, vcc
	s_waitcnt lgkmcnt(0)
	v_cmp_lt_u64_e32 vcc, v[0:1], v[42:43]
	s_and_saveexec_b64 s[40:41], vcc
	s_cbranch_execz .LBB4_53
; %bb.45:                               ;   in Loop: Header=BB4_23 Depth=1
	s_mov_b32 s52, 0
	s_mov_b64 s[42:43], 0
                                        ; implicit-def: $sgpr44_sgpr45
                                        ; implicit-def: $sgpr46_sgpr47
	s_branch .LBB4_47
.LBB4_46:                               ;   in Loop: Header=BB4_47 Depth=2
	s_or_b64 exec, exec, s[50:51]
	s_and_b64 vcc, exec, vcc
	s_or_b64 s[42:43], vcc, s[42:43]
	s_andn2_b64 vcc, s[44:45], exec
	s_and_b64 s[44:45], s[46:47], exec
	s_or_b64 s[44:45], vcc, s[44:45]
	s_andn2_b64 exec, exec, s[42:43]
	s_cbranch_execz .LBB4_51
.LBB4_47:                               ;   Parent Loop BB4_23 Depth=1
                                        ; =>  This Inner Loop Header: Depth=2
	s_add_i32 s52, s52, 1
	s_cmpk_lg_i32 s52, 0x2710
	s_cselect_b64 s[48:49], -1, 0
	s_and_b64 vcc, exec, s[48:49]
                                        ; implicit-def: $sgpr50_sgpr51
	s_cbranch_vccnz .LBB4_49
; %bb.48:                               ;   in Loop: Header=BB4_47 Depth=2
	s_trap 2
	ds_read_b64 v[0:1], v0
	s_andn2_b64 s[48:49], s[48:49], exec
	s_mov_b32 s52, 0
	s_mov_b64 s[50:51], -1
	s_waitcnt lgkmcnt(0)
	flat_load_dword v0, v[0:1] glc
	s_waitcnt vmcnt(0) lgkmcnt(0)
	buffer_invl2
	buffer_wbinvl1_vol
	v_cmp_eq_u32_e32 vcc, 0, v0
	s_and_b64 vcc, vcc, exec
	s_or_b64 s[48:49], s[48:49], vcc
.LBB4_49:                               ;   in Loop: Header=BB4_47 Depth=2
	s_andn2_b64 s[46:47], s[46:47], exec
	s_and_b64 s[50:51], s[50:51], exec
	s_mov_b64 vcc, -1
	s_or_b64 s[46:47], s[46:47], s[50:51]
	s_and_saveexec_b64 s[50:51], s[48:49]
	s_cbranch_execz .LBB4_46
; %bb.50:                               ;   in Loop: Header=BB4_47 Depth=2
	s_sleep 1
	s_trap 2
	ds_read_b64 v[0:1], v0
	s_andn2_b64 s[46:47], s[46:47], exec
	s_waitcnt lgkmcnt(0)
	v_cmp_ge_u64_e32 vcc, v[0:1], v[42:43]
	s_orn2_b64 vcc, vcc, exec
	s_branch .LBB4_46
.LBB4_51:                               ;   in Loop: Header=BB4_23 Depth=1
	s_or_b64 exec, exec, s[42:43]
	s_and_saveexec_b64 vcc, s[44:45]
	s_xor_b64 vcc, exec, vcc
	s_cbranch_execz .LBB4_53
; %bb.52:                               ;   in Loop: Header=BB4_23 Depth=1
	v_mov_b32_e32 v0, 1
	ds_write_b32 v0, v0
	s_trap 2
.LBB4_53:                               ;   in Loop: Header=BB4_23 Depth=1
	s_or_b64 exec, exec, s[40:41]
	;;#ASMSTART
	s_wakeup
	;;#ASMEND
.LBB4_54:                               ;   in Loop: Header=BB4_23 Depth=1
	s_or_b64 exec, exec, s[38:39]
.LBB4_55:                               ;   in Loop: Header=BB4_23 Depth=1
	s_andn2_saveexec_b64 s[20:21], s[20:21]
	s_cbranch_execz .LBB4_57
; %bb.56:                               ;   in Loop: Header=BB4_23 Depth=1
	s_waitcnt vmcnt(0) lgkmcnt(0)
	buffer_wbinvl1_vol
	s_barrier
.LBB4_57:                               ;   in Loop: Header=BB4_23 Depth=1
	s_or_b64 exec, exec, s[20:21]
.LBB4_58:                               ;   in Loop: Header=BB4_23 Depth=1
	s_or_b64 exec, exec, s[18:19]
	v_accvgpr_read_b32 v0, a40
	v_sub_u32_e32 v6, v0, v22
	v_cmp_lt_i32_e64 s[18:19], 0, v6
	v_and_b32_e32 v1, 7, v16
	v_mov_b32_e32 v0, v22
	s_and_saveexec_b64 s[20:21], s[18:19]
	s_cbranch_execz .LBB4_62
; %bb.59:                               ;   in Loop: Header=BB4_23 Depth=1
	v_accvgpr_read_b32 v18, a32
	v_accvgpr_read_b32 v24, a36
	s_waitcnt vmcnt(0) lgkmcnt(0)
	v_ashrrev_i32_e32 v0, 31, v2
	v_mul_lo_u32 v4, v1, v62
	v_mov_b32_e32 v3, v16
	v_add_co_u32_e64 v7, vcc, 0, 0
	v_accvgpr_read_b32 v19, a33
	v_accvgpr_read_b32 v25, a37
	v_ashrrev_i32_e32 v5, 31, v4
	v_addc_co_u32_e32 v3, vcc, 1, v3, vcc
	v_mad_u64_u32 v[18:19], vcc, v24, v2, v[18:19]
	v_mul_lo_u32 v2, v25, v2
	v_mul_lo_u32 v0, v24, v0
	v_add3_u32 v19, v2, v19, v0
	v_lshlrev_b64 v[4:5], 4, v[4:5]
	v_accvgpr_read_b32 v2, a31
	v_add_co_u32_e32 v24, vcc, v2, v4
	v_accvgpr_read_b32 v2, a35
	v_mov_b32_e32 v0, v22
	v_addc_co_u32_e32 v25, vcc, v2, v5, vcc
	s_mov_b64 s[38:39], 0
	v_mov_b32_e32 v9, v6
.LBB4_60:                               ;   Parent Loop BB4_23 Depth=1
                                        ; =>  This Inner Loop Header: Depth=2
	global_load_dwordx2 v[22:23], v[18:19], off glc slc
	v_add_co_u32_e32 v18, vcc, v18, v34
	v_sub_u32_e32 v9, v9, v20
	v_addc_co_u32_e32 v19, vcc, v19, v35, vcc
	v_mov_b32_e32 v5, v3
	v_cmp_gt_i32_e32 vcc, 1, v9
	s_or_b64 s[38:39], vcc, s[38:39]
	v_add_u32_e32 v0, v0, v20
	s_waitcnt vmcnt(0)
	v_mov_b32_e32 v4, v23
	v_or_b32_e32 v2, v22, v7
	v_or_b32_e32 v4, v4, v7
	global_store_dwordx4 v[24:25], v[2:5], off
	v_add_co_u32_e32 v24, vcc, v24, v10
	v_addc_co_u32_e32 v25, vcc, v25, v11, vcc
	s_andn2_b64 exec, exec, s[38:39]
	s_cbranch_execnz .LBB4_60
; %bb.61:                               ;   in Loop: Header=BB4_23 Depth=1
	s_or_b64 exec, exec, s[38:39]
	v_mov_b32_e32 v22, v30
.LBB4_62:                               ;   in Loop: Header=BB4_23 Depth=1
	s_or_b64 exec, exec, s[20:21]
	v_and_b32_e32 v46, 0x7ffffff8, v16
	v_cmp_eq_u64_e32 vcc, s[36:37], v[46:47]
	v_cmp_gt_i32_e64 s[20:21], v62, v0
	s_and_b64 s[20:21], vcc, s[20:21]
	s_and_saveexec_b64 s[38:39], s[20:21]
	s_cbranch_execz .LBB4_65
; %bb.63:                               ;   in Loop: Header=BB4_23 Depth=1
	v_mul_lo_u32 v4, v1, v62
	v_mov_b32_e32 v1, v16
	s_waitcnt vmcnt(0) lgkmcnt(0)
	v_add_co_u32_e64 v2, vcc, 0, 0
	v_ashrrev_i32_e32 v5, 31, v4
	v_addc_co_u32_e32 v3, vcc, 1, v1, vcc
	v_ashrrev_i32_e32 v1, 31, v0
	v_lshlrev_b64 v[18:19], 4, v[0:1]
	v_lshlrev_b64 v[4:5], 4, v[4:5]
	v_add_co_u32_e32 v1, vcc, v18, v4
	v_addc_co_u32_e32 v4, vcc, v19, v5, vcc
	v_add_co_u32_e32 v18, vcc, v48, v1
	v_addc_co_u32_e32 v19, vcc, v49, v4, vcc
	s_mov_b64 s[40:41], 0
.LBB4_64:                               ;   Parent Loop BB4_23 Depth=1
                                        ; =>  This Inner Loop Header: Depth=2
	v_mov_b32_e32 v4, v2
	v_mov_b32_e32 v5, v3
	v_add_u32_e32 v0, v0, v20
	global_store_dwordx4 v[18:19], v[2:5], off
	v_cmp_ge_i32_e32 vcc, v0, v62
	v_add_co_u32_e64 v18, s[20:21], v18, v10
	s_or_b64 s[40:41], vcc, s[40:41]
	v_addc_co_u32_e64 v19, vcc, v19, v11, s[20:21]
	s_andn2_b64 exec, exec, s[40:41]
	s_cbranch_execnz .LBB4_64
.LBB4_65:                               ;   in Loop: Header=BB4_23 Depth=1
	s_or_b64 exec, exec, s[38:39]
	v_accvgpr_read_b32 v0, a4
	v_accvgpr_read_b32 v1, a5
	v_add_co_u32_e32 v0, vcc, v44, v0
	v_accvgpr_write_b32 a6, v60
	v_addc_co_u32_e32 v1, vcc, v45, v1, vcc
	v_accvgpr_write_b32 a7, v61
	v_add_co_u32_e32 v60, vcc, 1, v16
	v_addc_co_u32_e32 v61, vcc, 0, v17, vcc
	v_accvgpr_write_b32 a38, v44
	s_andn2_b64 vcc, exec, s[34:35]
	v_lshlrev_b64 v[18:19], 3, v[0:1]
	v_accvgpr_write_b32 a39, v45
	s_cbranch_vccnz .LBB4_143
; %bb.66:                               ;   in Loop: Header=BB4_23 Depth=1
	v_accvgpr_read_b32 v0, a26
	v_add_co_u32_e32 v21, vcc, v0, v18
	v_accvgpr_read_b32 v0, a27
	v_addc_co_u32_e32 v9, vcc, v0, v19, vcc
	v_add_u16_e32 v52, 1, v16
	s_mov_b32 s54, 2
	s_branch .LBB4_68
.LBB4_67:                               ;   in Loop: Header=BB4_68 Depth=2
	s_or_b64 exec, exec, s[38:39]
	v_add_co_u32_e32 v38, vcc, 1, v38
	v_addc_co_u32_e32 v39, vcc, 0, v39, vcc
	s_add_i32 s54, s54, 1
	v_add_co_u32_e32 v60, vcc, 1, v60
	v_addc_co_u32_e32 v61, vcc, 0, v61, vcc
	s_cmp_eq_u32 s54, s22
	v_add_u16_e32 v52, 1, v52
	s_cbranch_scc1 .LBB4_144
.LBB4_68:                               ;   Parent Loop BB4_23 Depth=1
                                        ; =>  This Loop Header: Depth=2
                                        ;       Child Loop BB4_83 Depth 3
                                        ;       Child Loop BB4_99 Depth 3
                                        ;       Child Loop BB4_114 Depth 3
                                        ;         Child Loop BB4_118 Depth 4
                                        ;       Child Loop BB4_132 Depth 3
                                        ;       Child Loop BB4_76 Depth 3
	s_sub_i32 s20, s22, s54
	s_ashr_i32 s21, s20, 31
	s_lshl_b64 s[20:21], s[20:21], 2
	v_mov_b32_e32 v1, s21
	v_add_co_u32_e32 v0, vcc, s20, v36
	v_addc_co_u32_e32 v1, vcc, v37, v1, vcc
	s_waitcnt vmcnt(0) lgkmcnt(0)
	flat_load_dword v2, v[0:1]
	s_and_saveexec_b64 s[20:21], s[6:7]
	s_cbranch_execnz .LBB4_77
; %bb.69:                               ;   in Loop: Header=BB4_68 Depth=2
	s_or_b64 exec, exec, s[20:21]
	s_and_saveexec_b64 s[20:21], s[10:11]
	s_cbranch_execnz .LBB4_92
.LBB4_70:                               ;   in Loop: Header=BB4_68 Depth=2
	s_or_b64 exec, exec, s[20:21]
	v_mov_b32_e32 v0, v22
	s_and_saveexec_b64 s[38:39], s[18:19]
	s_cbranch_execnz .LBB4_110
.LBB4_71:                               ;   in Loop: Header=BB4_68 Depth=2
	s_or_b64 exec, exec, s[38:39]
	s_and_saveexec_b64 s[20:21], s[10:11]
	s_cbranch_execnz .LBB4_125
.LBB4_72:                               ;   in Loop: Header=BB4_68 Depth=2
	s_or_b64 exec, exec, s[20:21]
	s_and_saveexec_b64 s[20:21], s[14:15]
	s_cbranch_execz .LBB4_74
.LBB4_73:                               ;   in Loop: Header=BB4_68 Depth=2
	v_add_co_u32_e32 v50, vcc, 1, v50
	s_waitcnt vmcnt(0) lgkmcnt(0)
	v_accvgpr_read_b32 v2, a16
	v_addc_co_u32_e32 v51, vcc, 0, v51, vcc
	v_accvgpr_read_b32 v3, a17
	flat_store_dwordx2 v[2:3], v[50:51]
.LBB4_74:                               ;   in Loop: Header=BB4_68 Depth=2
	s_or_b64 exec, exec, s[20:21]
	v_and_b32_e32 v46, 0x7ffffff8, v60
	v_cmp_eq_u64_e32 vcc, s[36:37], v[46:47]
	v_cmp_gt_i32_e64 s[20:21], v62, v0
	s_and_b64 s[20:21], vcc, s[20:21]
	s_and_saveexec_b64 s[38:39], s[20:21]
	s_cbranch_execz .LBB4_67
; %bb.75:                               ;   in Loop: Header=BB4_68 Depth=2
	v_and_b32_e32 v1, 7, v52
	s_waitcnt vmcnt(0) lgkmcnt(0)
	v_mul_lo_u32 v2, v62, v1
	v_ashrrev_i32_e32 v3, 31, v2
	v_lshlrev_b64 v[4:5], 4, v[2:3]
	v_mov_b32_e32 v1, v60
	v_add_co_u32_e64 v2, vcc, 0, 0
	v_addc_co_u32_e32 v3, vcc, 1, v1, vcc
	v_ashrrev_i32_e32 v1, 31, v0
	v_lshlrev_b64 v[16:17], 4, v[0:1]
	v_add_co_u32_e32 v1, vcc, v16, v4
	v_addc_co_u32_e32 v4, vcc, v17, v5, vcc
	v_add_co_u32_e32 v16, vcc, v48, v1
	v_addc_co_u32_e32 v17, vcc, v49, v4, vcc
	s_mov_b64 s[40:41], 0
.LBB4_76:                               ;   Parent Loop BB4_23 Depth=1
                                        ;     Parent Loop BB4_68 Depth=2
                                        ; =>    This Inner Loop Header: Depth=3
	v_mov_b32_e32 v4, v2
	v_mov_b32_e32 v5, v3
	v_add_u32_e32 v0, v0, v20
	global_store_dwordx4 v[16:17], v[2:5], off
	v_cmp_ge_i32_e32 vcc, v0, v62
	v_add_co_u32_e64 v16, s[20:21], v16, v10
	s_or_b64 s[40:41], vcc, s[40:41]
	v_addc_co_u32_e64 v17, vcc, v17, v11, s[20:21]
	s_andn2_b64 exec, exec, s[40:41]
	s_cbranch_execnz .LBB4_76
	s_branch .LBB4_67
.LBB4_77:                               ;   in Loop: Header=BB4_68 Depth=2
	v_add_co_u32_e32 v0, vcc, 1, v14
	v_addc_co_u32_e32 v1, vcc, 0, v15, vcc
	v_add_co_u32_e32 v4, vcc, 8, v40
	v_addc_co_u32_e32 v5, vcc, 0, v41, vcc
	v_cmp_lt_u64_e32 vcc, v[4:5], v[0:1]
	s_and_saveexec_b64 s[38:39], vcc
	s_cbranch_execz .LBB4_89
; %bb.78:                               ;   in Loop: Header=BB4_68 Depth=2
	s_sleep 1
	flat_load_dwordx2 v[40:41], v[54:55] glc
	v_cmp_eq_u32_e32 vcc, 0, v58
	s_and_saveexec_b64 s[40:41], vcc
	s_cbranch_execz .LBB4_88
; %bb.79:                               ;   in Loop: Header=BB4_68 Depth=2
	v_cndmask_b32_e64 v3, 0, 1, vcc
	s_mov_b64 s[42:43], 0
                                        ; implicit-def: $sgpr44_sgpr45
	s_branch .LBB4_83
.LBB4_80:                               ;   in Loop: Header=BB4_83 Depth=3
	s_or_b64 exec, exec, s[52:53]
	s_orn2_b64 s[50:51], s[50:51], exec
.LBB4_81:                               ;   in Loop: Header=BB4_83 Depth=3
	s_or_b64 exec, exec, s[48:49]
	s_xor_b64 vcc, s[50:51], -1
	s_andn2_b64 s[44:45], s[44:45], exec
	s_and_b64 vcc, vcc, exec
	s_or_b64 s[44:45], s[44:45], vcc
.LBB4_82:                               ;   in Loop: Header=BB4_83 Depth=3
	s_or_b64 exec, exec, s[46:47]
	s_and_b64 vcc, exec, s[44:45]
	s_or_b64 s[42:43], vcc, s[42:43]
	s_andn2_b64 exec, exec, s[42:43]
	s_cbranch_execz .LBB4_87
.LBB4_83:                               ;   Parent Loop BB4_23 Depth=1
                                        ;     Parent Loop BB4_68 Depth=2
                                        ; =>    This Inner Loop Header: Depth=3
	s_waitcnt vmcnt(0) lgkmcnt(0)
	v_add_co_u32_e32 v4, vcc, 8, v40
	v_addc_co_u32_e32 v5, vcc, 0, v41, vcc
	v_cmp_lt_u64_e32 vcc, v[4:5], v[0:1]
	v_mov_b32_e32 v58, 0
	s_or_b64 s[44:45], s[44:45], exec
	s_and_saveexec_b64 s[46:47], vcc
	s_cbranch_execz .LBB4_82
; %bb.84:                               ;   in Loop: Header=BB4_83 Depth=3
	s_sleep 1
	flat_load_dwordx2 v[40:41], v[54:55] glc
	v_add_u32_e32 v3, 1, v3
	v_cmp_eq_u32_e32 vcc, s23, v3
	s_mov_b64 s[50:51], -1
	v_mov_b32_e32 v58, 0
	s_and_saveexec_b64 s[48:49], vcc
	s_cbranch_execz .LBB4_81
; %bb.85:                               ;   in Loop: Header=BB4_83 Depth=3
	s_trap 2
	ds_read_b64 v[4:5], v0
	v_mov_b32_e32 v3, 0
	v_mov_b32_e32 v58, 0
	s_waitcnt vmcnt(0) lgkmcnt(0)
	flat_load_dword v4, v[4:5] glc
	s_waitcnt vmcnt(0) lgkmcnt(0)
	buffer_invl2
	buffer_wbinvl1_vol
	v_cmp_ne_u32_e32 vcc, 0, v4
	s_and_saveexec_b64 s[52:53], vcc
	s_cbranch_execz .LBB4_80
; %bb.86:                               ;   in Loop: Header=BB4_83 Depth=3
	v_mov_b32_e32 v58, 1
	s_xor_b64 s[50:51], exec, -1
	ds_write_b32 v0, v4
	s_trap 2
	s_branch .LBB4_80
.LBB4_87:                               ;   in Loop: Header=BB4_68 Depth=2
	s_or_b64 exec, exec, s[42:43]
.LBB4_88:                               ;   in Loop: Header=BB4_68 Depth=2
	s_or_b64 exec, exec, s[40:41]
.LBB4_89:                               ;   in Loop: Header=BB4_68 Depth=2
	s_or_b64 exec, exec, s[38:39]
	s_and_saveexec_b64 s[38:39], s[8:9]
	s_cbranch_execz .LBB4_91
; %bb.90:                               ;   in Loop: Header=BB4_68 Depth=2
	v_and_b32_e32 v46, 0x7ffffff8, v14
	v_cmp_eq_u64_e32 vcc, s[36:37], v[46:47]
	v_accvgpr_read_b32 v3, a40
	v_cndmask_b32_e32 v3, v3, v62, vcc
	v_lshlrev_b32_e32 v4, 4, v3
	v_and_b32_e32 v3, 7, v14
	v_ashrrev_i32_e32 v5, 31, v4
	v_mad_u64_u32 v[14:15], vcc, v3, 24, v[12:13]
	flat_store_dwordx2 v[14:15], v[4:5] offset:8
	s_waitcnt vmcnt(0)
.LBB4_91:                               ;   in Loop: Header=BB4_68 Depth=2
	s_or_b64 exec, exec, s[38:39]
	v_pk_mov_b32 v[14:15], v[0:1], v[0:1] op_sel:[0,1]
	s_or_b64 exec, exec, s[20:21]
	s_and_saveexec_b64 s[20:21], s[10:11]
	s_cbranch_execz .LBB4_70
.LBB4_92:                               ;   in Loop: Header=BB4_68 Depth=2
	s_and_saveexec_b64 vcc, s[30:31]
	s_xor_b64 s[38:39], exec, vcc
	s_cbranch_execz .LBB4_107
; %bb.93:                               ;   in Loop: Header=BB4_68 Depth=2
	s_and_saveexec_b64 s[40:41], s[12:13]
	s_cbranch_execz .LBB4_106
; %bb.94:                               ;   in Loop: Header=BB4_68 Depth=2
	s_mov_b64 s[44:45], exec
	v_mbcnt_lo_u32_b32 v0, s44, 0
	v_mbcnt_hi_u32_b32 v0, s45, v0
	v_cmp_eq_u32_e32 vcc, 0, v0
	s_waitcnt vmcnt(0) lgkmcnt(0)
	buffer_wbinvl1_vol
	s_and_saveexec_b64 s[42:43], vcc
	s_cbranch_execz .LBB4_96
; %bb.95:                               ;   in Loop: Header=BB4_68 Depth=2
	s_bcnt1_i32_b64 vcc_lo, s[44:45]
	v_mov_b32_e32 v46, vcc_lo
	ds_add_u64 v0, v[46:47]
	s_trap 2
.LBB4_96:                               ;   in Loop: Header=BB4_68 Depth=2
	s_or_b64 exec, exec, s[42:43]
	s_trap 2
	ds_read_b64 v[0:1], v0
	v_accvgpr_read_b32 v4, a22
	v_add_co_u32_e32 v42, vcc, v42, v4
	v_accvgpr_read_b32 v3, a23
	v_addc_co_u32_e32 v43, vcc, v43, v3, vcc
	s_waitcnt lgkmcnt(0)
	v_cmp_lt_u64_e32 vcc, v[0:1], v[42:43]
	s_and_saveexec_b64 s[42:43], vcc
	s_cbranch_execz .LBB4_105
; %bb.97:                               ;   in Loop: Header=BB4_68 Depth=2
	s_mov_b32 s55, 0
	s_mov_b64 s[44:45], 0
                                        ; implicit-def: $sgpr46_sgpr47
                                        ; implicit-def: $sgpr48_sgpr49
	s_branch .LBB4_99
.LBB4_98:                               ;   in Loop: Header=BB4_99 Depth=3
	s_or_b64 exec, exec, s[52:53]
	s_and_b64 vcc, exec, vcc
	s_or_b64 s[44:45], vcc, s[44:45]
	s_andn2_b64 vcc, s[46:47], exec
	s_and_b64 s[46:47], s[48:49], exec
	s_or_b64 s[46:47], vcc, s[46:47]
	s_andn2_b64 exec, exec, s[44:45]
	s_cbranch_execz .LBB4_103
.LBB4_99:                               ;   Parent Loop BB4_23 Depth=1
                                        ;     Parent Loop BB4_68 Depth=2
                                        ; =>    This Inner Loop Header: Depth=3
	s_add_i32 s55, s55, 1
	s_cmpk_lg_i32 s55, 0x2710
	s_cselect_b64 s[50:51], -1, 0
	s_and_b64 vcc, exec, s[50:51]
                                        ; implicit-def: $sgpr52_sgpr53
	s_cbranch_vccnz .LBB4_101
; %bb.100:                              ;   in Loop: Header=BB4_99 Depth=3
	s_trap 2
	ds_read_b64 v[0:1], v0
	s_andn2_b64 s[50:51], s[50:51], exec
	s_mov_b32 s55, 0
	s_mov_b64 s[52:53], -1
	s_waitcnt lgkmcnt(0)
	flat_load_dword v0, v[0:1] glc
	s_waitcnt vmcnt(0) lgkmcnt(0)
	buffer_invl2
	buffer_wbinvl1_vol
	v_cmp_eq_u32_e32 vcc, 0, v0
	s_and_b64 vcc, vcc, exec
	s_or_b64 s[50:51], s[50:51], vcc
.LBB4_101:                              ;   in Loop: Header=BB4_99 Depth=3
	s_andn2_b64 s[48:49], s[48:49], exec
	s_and_b64 s[52:53], s[52:53], exec
	s_mov_b64 vcc, -1
	s_or_b64 s[48:49], s[48:49], s[52:53]
	s_and_saveexec_b64 s[52:53], s[50:51]
	s_cbranch_execz .LBB4_98
; %bb.102:                              ;   in Loop: Header=BB4_99 Depth=3
	s_sleep 1
	s_trap 2
	ds_read_b64 v[0:1], v0
	s_andn2_b64 s[48:49], s[48:49], exec
	s_waitcnt lgkmcnt(0)
	v_cmp_ge_u64_e32 vcc, v[0:1], v[42:43]
	s_orn2_b64 vcc, vcc, exec
	s_branch .LBB4_98
.LBB4_103:                              ;   in Loop: Header=BB4_68 Depth=2
	s_or_b64 exec, exec, s[44:45]
	s_and_saveexec_b64 vcc, s[46:47]
	s_xor_b64 vcc, exec, vcc
	s_cbranch_execz .LBB4_105
; %bb.104:                              ;   in Loop: Header=BB4_68 Depth=2
	v_mov_b32_e32 v0, 1
	ds_write_b32 v0, v0
	s_trap 2
.LBB4_105:                              ;   in Loop: Header=BB4_68 Depth=2
	s_or_b64 exec, exec, s[42:43]
	;;#ASMSTART
	s_wakeup
	;;#ASMEND
.LBB4_106:                              ;   in Loop: Header=BB4_68 Depth=2
	s_or_b64 exec, exec, s[40:41]
.LBB4_107:                              ;   in Loop: Header=BB4_68 Depth=2
	s_andn2_saveexec_b64 vcc, s[38:39]
	s_cbranch_execz .LBB4_109
; %bb.108:                              ;   in Loop: Header=BB4_68 Depth=2
	s_waitcnt vmcnt(0) lgkmcnt(0)
	buffer_wbinvl1_vol
	s_barrier
.LBB4_109:                              ;   in Loop: Header=BB4_68 Depth=2
	s_or_b64 exec, exec, vcc
	s_or_b64 exec, exec, s[20:21]
	v_mov_b32_e32 v0, v22
	s_and_saveexec_b64 s[38:39], s[18:19]
	s_cbranch_execz .LBB4_71
.LBB4_110:                              ;   in Loop: Header=BB4_68 Depth=2
	s_waitcnt vmcnt(0) lgkmcnt(0)
	v_ashrrev_i32_e32 v0, 31, v2
	v_mul_lo_u32 v3, v57, v2
	v_mul_lo_u32 v4, v56, v0
	v_mad_u64_u32 v[0:1], s[20:21], v56, v2, 0
	v_add3_u32 v1, v1, v4, v3
	v_lshlrev_b64 v[0:1], 3, v[0:1]
	v_add_co_u32_e32 v44, vcc, v21, v0
	v_and_b32_e32 v0, 7, v38
	v_mul_lo_u32 v0, v0, v62
	v_addc_co_u32_e32 v45, vcc, v9, v1, vcc
	v_ashrrev_i32_e32 v1, 31, v0
	v_lshlrev_b64 v[0:1], 4, v[0:1]
	v_accvgpr_read_b32 v2, a14
	v_accvgpr_write_b32 a30, v53
	v_add_co_u32_e32 v53, vcc, v2, v0
	v_and_b32_e32 v0, 7, v60
	v_accvgpr_read_b32 v3, a15
	v_mul_lo_u32 v0, v0, v62
	v_addc_co_u32_e32 v46, vcc, v3, v1, vcc
	v_ashrrev_i32_e32 v1, 31, v0
	v_lshlrev_b64 v[0:1], 4, v[0:1]
	v_accvgpr_write_b32 a0, v36
	v_add_co_u32_e32 v33, vcc, v48, v0
	v_accvgpr_write_b32 a1, v37
	v_addc_co_u32_e32 v36, vcc, v49, v1, vcc
	v_accvgpr_write_b32 a43, v19
	v_mov_b32_e32 v1, v60
	v_add_co_u32_e64 v37, vcc, 0, 0
	v_accvgpr_write_b32 a42, v18
	v_add_u32_e32 v32, 1, v38
	v_addc_co_u32_e32 v3, vcc, 1, v1, vcc
	s_mov_b64 s[40:41], 0
	v_mov_b32_e32 v29, v58
	v_mov_b32_e32 v7, v6
	v_mov_b32_e32 v0, v22
	s_branch .LBB4_114
.LBB4_111:                              ;   in Loop: Header=BB4_114 Depth=3
	s_or_b64 exec, exec, s[46:47]
.LBB4_112:                              ;   in Loop: Header=BB4_114 Depth=3
	s_or_b64 exec, exec, s[44:45]
.LBB4_113:                              ;   in Loop: Header=BB4_114 Depth=3
	s_or_b64 exec, exec, s[42:43]
	v_add_co_u32_e32 v44, vcc, v44, v34
	v_addc_co_u32_e32 v45, vcc, v45, v35, vcc
	s_waitcnt vmcnt(0)
	v_add_co_u32_e32 v1, vcc, v16, v4
	v_addc_co_u32_e32 v4, vcc, 0, v5, vcc
	v_add_co_u32_e32 v16, vcc, v33, v22
	v_addc_co_u32_e32 v17, vcc, v36, v23, vcc
	v_sub_u32_e32 v7, v7, v20
	v_or_b32_e32 v2, v1, v37
	v_add_u32_e32 v1, v4, v18
	v_cmp_gt_i32_e32 vcc, 1, v7
	v_or_b32_e32 v4, v37, v1
	v_mov_b32_e32 v5, v3
	s_or_b64 s[40:41], vcc, s[40:41]
	v_add_u32_e32 v0, v0, v20
	global_store_dwordx4 v[16:17], v[2:5], off
	s_andn2_b64 exec, exec, s[40:41]
	s_cbranch_execz .LBB4_124
.LBB4_114:                              ;   Parent Loop BB4_23 Depth=1
                                        ;     Parent Loop BB4_68 Depth=2
                                        ; =>    This Loop Header: Depth=3
                                        ;         Child Loop BB4_118 Depth 4
	v_ashrrev_i32_e32 v1, 31, v0
	v_lshlrev_b64 v[22:23], 4, v[0:1]
	v_add_co_u32_e32 v24, vcc, v53, v22
	v_addc_co_u32_e32 v25, vcc, v46, v23, vcc
	global_load_dwordx2 v[4:5], v[44:45], off glc slc
	global_load_dwordx4 v[16:19], v[24:25], off glc slc
	v_cmp_eq_u32_e32 vcc, 0, v29
	s_and_saveexec_b64 s[42:43], vcc
	s_cbranch_execz .LBB4_113
; %bb.115:                              ;   in Loop: Header=BB4_114 Depth=3
	s_waitcnt vmcnt(0)
	v_cmp_ne_u32_e32 vcc, v32, v17
	v_cmp_ne_u32_e64 s[20:21], v32, v19
	s_or_b64 s[20:21], vcc, s[20:21]
	v_mov_b32_e32 v29, 0
	s_and_saveexec_b64 s[44:45], s[20:21]
	s_cbranch_execz .LBB4_112
; %bb.116:                              ;   in Loop: Header=BB4_114 Depth=3
	s_mov_b32 s50, 1
	s_mov_b64 s[46:47], 0
	v_mov_b32_e32 v29, 0
	s_branch .LBB4_118
.LBB4_117:                              ;   in Loop: Header=BB4_118 Depth=4
	s_or_b64 exec, exec, s[48:49]
	s_and_b64 s[20:21], exec, s[20:21]
	s_or_b64 s[46:47], s[20:21], s[46:47]
	s_andn2_b64 exec, exec, s[46:47]
	s_cbranch_execz .LBB4_111
.LBB4_118:                              ;   Parent Loop BB4_23 Depth=1
                                        ;     Parent Loop BB4_68 Depth=2
                                        ;       Parent Loop BB4_114 Depth=3
                                        ; =>      This Inner Loop Header: Depth=4
	global_load_dwordx4 v[16:19], v[24:25], off glc slc
	s_add_i32 s50, s50, 1
	s_cmpk_lg_i32 s50, 0x2710
	s_cbranch_scc1 .LBB4_122
; %bb.119:                              ;   in Loop: Header=BB4_118 Depth=4
	s_trap 2
	ds_read_b64 v[26:27], v0
	v_mov_b32_e32 v29, v58
	s_waitcnt vmcnt(0) lgkmcnt(0)
	flat_load_dword v1, v[26:27] glc
	s_waitcnt vmcnt(0) lgkmcnt(0)
	buffer_invl2
	buffer_wbinvl1_vol
	v_cmp_ne_u32_e32 vcc, 0, v1
	s_and_saveexec_b64 s[20:21], vcc
	s_cbranch_execz .LBB4_121
; %bb.120:                              ;   in Loop: Header=BB4_118 Depth=4
	v_or_b32_e32 v29, 1, v58
	v_mov_b32_e32 v58, 1
	ds_write_b32 v0, v1
	s_trap 2
.LBB4_121:                              ;   in Loop: Header=BB4_118 Depth=4
	s_or_b64 exec, exec, s[20:21]
	v_mov_b32_e32 v1, v58
	s_mov_b32 s50, 0
	v_mov_b32_e32 v58, v29
	v_cmp_eq_u32_e32 vcc, 0, v1
	s_mov_b64 s[20:21], -1
	s_and_saveexec_b64 s[48:49], vcc
	s_cbranch_execz .LBB4_117
	s_branch .LBB4_123
.LBB4_122:                              ;   in Loop: Header=BB4_118 Depth=4
	v_mov_b32_e32 v1, 0
	v_cmp_eq_u32_e32 vcc, 0, v1
	s_mov_b64 s[20:21], -1
	s_and_saveexec_b64 s[48:49], vcc
	s_cbranch_execz .LBB4_117
.LBB4_123:                              ;   in Loop: Header=BB4_118 Depth=4
	s_waitcnt vmcnt(0)
	v_cmp_eq_u32_e32 vcc, v32, v17
	v_cmp_eq_u32_e64 s[20:21], v32, v19
	s_and_b64 s[20:21], vcc, s[20:21]
	s_orn2_b64 s[20:21], s[20:21], exec
	s_branch .LBB4_117
.LBB4_124:                              ;   in Loop: Header=BB4_68 Depth=2
	s_or_b64 exec, exec, s[40:41]
	v_accvgpr_read_b32 v37, a1
	v_accvgpr_read_b32 v45, a39
	;; [unrolled: 1-line block ×3, first 2 shown]
	v_mov_b32_e32 v22, v30
	v_accvgpr_read_b32 v36, a0
	v_accvgpr_read_b32 v53, a30
	;; [unrolled: 1-line block ×4, first 2 shown]
	s_or_b64 exec, exec, s[38:39]
	s_and_saveexec_b64 s[20:21], s[10:11]
	s_cbranch_execz .LBB4_72
.LBB4_125:                              ;   in Loop: Header=BB4_68 Depth=2
	s_and_saveexec_b64 vcc, s[30:31]
	s_xor_b64 s[38:39], exec, vcc
	s_cbranch_execz .LBB4_140
; %bb.126:                              ;   in Loop: Header=BB4_68 Depth=2
	s_and_saveexec_b64 s[40:41], s[12:13]
	s_cbranch_execz .LBB4_139
; %bb.127:                              ;   in Loop: Header=BB4_68 Depth=2
	s_mov_b64 s[44:45], exec
	v_mbcnt_lo_u32_b32 v1, s44, 0
	v_mbcnt_hi_u32_b32 v1, s45, v1
	v_cmp_eq_u32_e32 vcc, 0, v1
	s_waitcnt vmcnt(0) lgkmcnt(0)
	buffer_wbinvl1_vol
	s_and_saveexec_b64 s[42:43], vcc
	s_cbranch_execz .LBB4_129
; %bb.128:                              ;   in Loop: Header=BB4_68 Depth=2
	s_bcnt1_i32_b64 vcc_lo, s[44:45]
	v_mov_b32_e32 v46, vcc_lo
	ds_add_u64 v0, v[46:47]
	s_trap 2
.LBB4_129:                              ;   in Loop: Header=BB4_68 Depth=2
	s_or_b64 exec, exec, s[42:43]
	s_trap 2
	ds_read_b64 v[2:3], v0
	v_accvgpr_read_b32 v4, a22
	v_add_co_u32_e32 v42, vcc, v42, v4
	v_accvgpr_read_b32 v1, a23
	v_addc_co_u32_e32 v43, vcc, v43, v1, vcc
	s_waitcnt lgkmcnt(0)
	v_cmp_lt_u64_e32 vcc, v[2:3], v[42:43]
	s_and_saveexec_b64 s[42:43], vcc
	s_cbranch_execz .LBB4_138
; %bb.130:                              ;   in Loop: Header=BB4_68 Depth=2
	s_mov_b32 s55, 0
	s_mov_b64 s[44:45], 0
                                        ; implicit-def: $sgpr46_sgpr47
                                        ; implicit-def: $sgpr48_sgpr49
	s_branch .LBB4_132
.LBB4_131:                              ;   in Loop: Header=BB4_132 Depth=3
	s_or_b64 exec, exec, s[52:53]
	s_and_b64 vcc, exec, vcc
	s_or_b64 s[44:45], vcc, s[44:45]
	s_andn2_b64 vcc, s[46:47], exec
	s_and_b64 s[46:47], s[48:49], exec
	s_or_b64 s[46:47], vcc, s[46:47]
	s_andn2_b64 exec, exec, s[44:45]
	s_cbranch_execz .LBB4_136
.LBB4_132:                              ;   Parent Loop BB4_23 Depth=1
                                        ;     Parent Loop BB4_68 Depth=2
                                        ; =>    This Inner Loop Header: Depth=3
	s_add_i32 s55, s55, 1
	s_cmpk_lg_i32 s55, 0x2710
	s_cselect_b64 s[50:51], -1, 0
	s_and_b64 vcc, exec, s[50:51]
                                        ; implicit-def: $sgpr52_sgpr53
	s_cbranch_vccnz .LBB4_134
; %bb.133:                              ;   in Loop: Header=BB4_132 Depth=3
	s_trap 2
	ds_read_b64 v[2:3], v0
	s_andn2_b64 s[50:51], s[50:51], exec
	s_mov_b32 s55, 0
	s_mov_b64 s[52:53], -1
	s_waitcnt lgkmcnt(0)
	flat_load_dword v1, v[2:3] glc
	s_waitcnt vmcnt(0) lgkmcnt(0)
	buffer_invl2
	buffer_wbinvl1_vol
	v_cmp_eq_u32_e32 vcc, 0, v1
	s_and_b64 vcc, vcc, exec
	s_or_b64 s[50:51], s[50:51], vcc
.LBB4_134:                              ;   in Loop: Header=BB4_132 Depth=3
	s_andn2_b64 s[48:49], s[48:49], exec
	s_and_b64 s[52:53], s[52:53], exec
	s_mov_b64 vcc, -1
	s_or_b64 s[48:49], s[48:49], s[52:53]
	s_and_saveexec_b64 s[52:53], s[50:51]
	s_cbranch_execz .LBB4_131
; %bb.135:                              ;   in Loop: Header=BB4_132 Depth=3
	s_sleep 1
	s_trap 2
	ds_read_b64 v[2:3], v0
	s_andn2_b64 s[48:49], s[48:49], exec
	s_waitcnt lgkmcnt(0)
	v_cmp_ge_u64_e32 vcc, v[2:3], v[42:43]
	s_orn2_b64 vcc, vcc, exec
	s_branch .LBB4_131
.LBB4_136:                              ;   in Loop: Header=BB4_68 Depth=2
	s_or_b64 exec, exec, s[44:45]
	s_and_saveexec_b64 vcc, s[46:47]
	s_xor_b64 vcc, exec, vcc
	s_cbranch_execz .LBB4_138
; %bb.137:                              ;   in Loop: Header=BB4_68 Depth=2
	v_mov_b32_e32 v1, 1
	ds_write_b32 v0, v1
	s_trap 2
.LBB4_138:                              ;   in Loop: Header=BB4_68 Depth=2
	s_or_b64 exec, exec, s[42:43]
	;;#ASMSTART
	s_wakeup
	;;#ASMEND
.LBB4_139:                              ;   in Loop: Header=BB4_68 Depth=2
	s_or_b64 exec, exec, s[40:41]
.LBB4_140:                              ;   in Loop: Header=BB4_68 Depth=2
	s_andn2_saveexec_b64 vcc, s[38:39]
	s_cbranch_execz .LBB4_142
; %bb.141:                              ;   in Loop: Header=BB4_68 Depth=2
	s_waitcnt vmcnt(0) lgkmcnt(0)
	buffer_wbinvl1_vol
	s_barrier
.LBB4_142:                              ;   in Loop: Header=BB4_68 Depth=2
	s_or_b64 exec, exec, vcc
	s_or_b64 exec, exec, s[20:21]
	s_and_saveexec_b64 s[20:21], s[14:15]
	s_cbranch_execnz .LBB4_73
	s_branch .LBB4_74
.LBB4_143:                              ;   in Loop: Header=BB4_23 Depth=1
	v_pk_mov_b32 v[16:17], v[60:61], v[60:61] op_sel:[0,1]
	v_accvgpr_read_b32 v61, a7
	v_accvgpr_read_b32 v60, a6
	s_and_saveexec_b64 s[20:21], s[18:19]
	s_cbranch_execnz .LBB4_145
	s_branch .LBB4_164
.LBB4_144:                              ;   in Loop: Header=BB4_23 Depth=1
	v_pk_mov_b32 v[16:17], v[60:61], v[60:61] op_sel:[0,1]
	v_accvgpr_read_b32 v33, a19
	v_accvgpr_read_b32 v61, a7
	;; [unrolled: 1-line block ×4, first 2 shown]
	s_and_saveexec_b64 s[20:21], s[18:19]
	s_cbranch_execz .LBB4_164
.LBB4_145:                              ;   in Loop: Header=BB4_23 Depth=1
	flat_load_dword v4, v[36:37]
	s_waitcnt vmcnt(0) lgkmcnt(0)
	v_accvgpr_read_b32 v2, a8
	v_accvgpr_read_b32 v3, a9
	v_add_co_u32_e32 v5, vcc, v2, v18
	v_addc_co_u32_e32 v7, vcc, v3, v19, vcc
	v_accvgpr_read_b32 v0, a28
	v_and_b32_e32 v2, 7, v38
	v_add_co_u32_e32 v0, vcc, v0, v18
	v_accvgpr_read_b32 v1, a29
	v_mul_lo_u32 v2, v2, v62
	v_addc_co_u32_e32 v1, vcc, v1, v19, vcc
	v_ashrrev_i32_e32 v3, 31, v2
	v_accvgpr_read_b32 v19, a15
	v_lshlrev_b64 v[2:3], 4, v[2:3]
	v_accvgpr_read_b32 v18, a14
	v_add_co_u32_e32 v21, vcc, v18, v2
	v_addc_co_u32_e32 v52, vcc, v19, v3, vcc
	v_add_u32_e32 v9, 1, v38
	s_mov_b64 s[38:39], 0
	v_mov_b32_e32 v24, v22
	v_ashrrev_i32_e32 v18, 31, v4
	v_mul_lo_u32 v19, v57, v4
	v_mad_u64_u32 v[2:3], s[18:19], v56, v4, 0
	v_mul_lo_u32 v4, v56, v18
	v_add3_u32 v3, v3, v4, v19
	v_lshlrev_b64 v[2:3], 3, v[2:3]
	v_add_co_u32_e32 v2, vcc, v5, v2
	v_addc_co_u32_e32 v3, vcc, v7, v3, vcc
	v_accvgpr_read_b32 v4, a24
	v_accvgpr_read_b32 v5, a25
	v_add_co_u32_e32 v18, vcc, v2, v4
	v_addc_co_u32_e32 v19, vcc, v3, v5, vcc
	s_branch .LBB4_147
.LBB4_146:                              ;   in Loop: Header=BB4_147 Depth=2
	v_add_co_u32_e32 v18, vcc, v18, v34
	v_addc_co_u32_e32 v19, vcc, v19, v35, vcc
	v_add_co_u32_e32 v0, vcc, v0, v34
	v_addc_co_u32_e32 v1, vcc, v1, v35, vcc
	v_sub_u32_e32 v6, v6, v20
	v_cmp_gt_i32_e32 vcc, 1, v6
	s_or_b64 s[38:39], vcc, s[38:39]
	v_add_u32_e32 v24, v24, v20
	s_andn2_b64 exec, exec, s[38:39]
	s_cbranch_execz .LBB4_163
.LBB4_147:                              ;   Parent Loop BB4_23 Depth=1
                                        ; =>  This Loop Header: Depth=2
                                        ;       Child Loop BB4_151 Depth 3
	v_ashrrev_i32_e32 v25, 31, v24
	v_lshlrev_b64 v[2:3], 4, v[24:25]
	v_add_co_u32_e32 v44, vcc, v21, v2
	v_addc_co_u32_e32 v45, vcc, v52, v3, vcc
	global_load_dwordx2 v[22:23], v[18:19], off glc slc
	global_load_dwordx4 v[2:5], v[44:45], off glc slc
	v_cmp_eq_u32_e32 vcc, 0, v58
	s_and_saveexec_b64 s[40:41], vcc
	s_cbranch_execz .LBB4_159
; %bb.148:                              ;   in Loop: Header=BB4_147 Depth=2
	s_waitcnt vmcnt(0)
	v_cmp_ne_u32_e32 vcc, v9, v3
	v_cmp_ne_u32_e64 s[18:19], v9, v5
	s_or_b64 s[18:19], vcc, s[18:19]
	v_mov_b32_e32 v58, 0
	s_and_saveexec_b64 s[42:43], s[18:19]
	s_cbranch_execz .LBB4_158
; %bb.149:                              ;   in Loop: Header=BB4_147 Depth=2
	s_mov_b32 s48, 1
	s_mov_b64 s[44:45], 0
	v_mov_b32_e32 v58, 0
	s_branch .LBB4_151
.LBB4_150:                              ;   in Loop: Header=BB4_151 Depth=3
	s_or_b64 exec, exec, s[46:47]
	s_and_b64 s[18:19], exec, s[18:19]
	s_or_b64 s[44:45], s[18:19], s[44:45]
	s_andn2_b64 exec, exec, s[44:45]
	s_cbranch_execz .LBB4_157
.LBB4_151:                              ;   Parent Loop BB4_23 Depth=1
                                        ;     Parent Loop BB4_147 Depth=2
                                        ; =>    This Inner Loop Header: Depth=3
	global_load_dwordx4 v[2:5], v[44:45], off glc slc
	s_add_i32 s48, s48, 1
	s_cmpk_lg_i32 s48, 0x2710
	s_cbranch_scc1 .LBB4_155
; %bb.152:                              ;   in Loop: Header=BB4_151 Depth=3
	s_trap 2
	ds_read_b64 v[32:33], v0
	s_waitcnt vmcnt(0) lgkmcnt(0)
	flat_load_dword v7, v[32:33] glc
	s_waitcnt vmcnt(0) lgkmcnt(0)
	buffer_invl2
	buffer_wbinvl1_vol
	v_cmp_ne_u32_e32 vcc, 0, v7
	s_and_saveexec_b64 s[18:19], vcc
	s_cbranch_execz .LBB4_154
; %bb.153:                              ;   in Loop: Header=BB4_151 Depth=3
	v_mov_b32_e32 v58, 1
	ds_write_b32 v0, v7
	s_trap 2
.LBB4_154:                              ;   in Loop: Header=BB4_151 Depth=3
	s_or_b64 exec, exec, s[18:19]
	s_mov_b32 s48, 0
	v_mov_b32_e32 v7, v58
	v_cmp_eq_u32_e32 vcc, 0, v7
	s_mov_b64 s[18:19], -1
	s_and_saveexec_b64 s[46:47], vcc
	s_cbranch_execz .LBB4_150
	s_branch .LBB4_156
.LBB4_155:                              ;   in Loop: Header=BB4_151 Depth=3
	v_mov_b32_e32 v7, 0
	v_cmp_eq_u32_e32 vcc, 0, v7
	s_mov_b64 s[18:19], -1
	s_and_saveexec_b64 s[46:47], vcc
	s_cbranch_execz .LBB4_150
.LBB4_156:                              ;   in Loop: Header=BB4_151 Depth=3
	s_waitcnt vmcnt(0)
	v_cmp_eq_u32_e32 vcc, v9, v3
	v_cmp_eq_u32_e64 s[18:19], v9, v5
	s_and_b64 s[18:19], vcc, s[18:19]
	s_orn2_b64 s[18:19], s[18:19], exec
	s_branch .LBB4_150
.LBB4_157:                              ;   in Loop: Header=BB4_147 Depth=2
	s_or_b64 exec, exec, s[44:45]
.LBB4_158:                              ;   in Loop: Header=BB4_147 Depth=2
	s_or_b64 exec, exec, s[42:43]
.LBB4_159:                              ;   in Loop: Header=BB4_147 Depth=2
	s_or_b64 exec, exec, s[40:41]
	s_waitcnt vmcnt(0)
	v_add_co_u32_e32 v2, vcc, v2, v22
	v_mov_b32_e32 v3, v4
	v_addc_co_u32_e32 v4, vcc, 0, v23, vcc
	v_add_co_u32_e32 v2, vcc, 0, v2
	v_addc_co_u32_e32 v3, vcc, v4, v3, vcc
	v_cmp_gt_i64_e32 vcc, 0, v[2:3]
	v_sub_co_u32_e64 v4, s[18:19], 0, v2
	s_and_b64 vcc, s[16:17], vcc
	v_subb_co_u32_e64 v5, s[18:19], 0, v3, s[18:19]
	v_cndmask_b32_e32 v25, v2, v4, vcc
	v_cndmask_b32_e32 v7, v3, v5, vcc
	v_mul_hi_u32 v46, v25, v28
	v_mad_u64_u32 v[2:3], s[18:19], v7, v28, v[46:47]
	v_mov_b32_e32 v46, v2
	v_mov_b32_e32 v2, v3
	;; [unrolled: 1-line block ×3, first 2 shown]
	v_mad_u64_u32 v[4:5], s[18:19], v25, v8, v[46:47]
	v_mad_u64_u32 v[2:3], s[18:19], v7, v8, v[2:3]
	v_mov_b32_e32 v4, v5
	v_add_co_u32_e64 v26, s[18:19], v2, v4
	v_addc_co_u32_e64 v27, s[18:19], 0, v3, s[18:19]
	v_mad_u64_u32 v[2:3], s[18:19], v26, v60, 0
	v_mov_b32_e32 v4, v3
	v_mad_u64_u32 v[4:5], s[18:19], v27, v60, v[4:5]
	v_mov_b32_e32 v3, v4
	v_sub_co_u32_e64 v2, s[18:19], v25, v2
	v_subb_co_u32_e64 v3, s[18:19], v7, v3, s[18:19]
	v_cmp_ge_u64_e64 s[18:19], v[2:3], v[60:61]
	v_cndmask_b32_e64 v2, 0, 1, s[18:19]
	v_add_co_u32_e64 v2, s[18:19], v26, v2
	v_addc_co_u32_e64 v3, s[18:19], 0, v27, s[18:19]
	v_sub_co_u32_e64 v4, s[18:19], 0, v2
	v_subb_co_u32_e64 v5, s[18:19], 0, v3, s[18:19]
	v_cndmask_b32_e32 v2, v2, v4, vcc
	v_mov_b32_e32 v4, v53
	v_cndmask_b32_e32 v3, v3, v5, vcc
	;;#ASMSTART
	;;#ASMEND
	v_cmp_ne_u32_e32 vcc, 0, v4
	s_cmp_lg_u64 vcc, exec
	s_mov_b64 s[18:19], -1
	s_cbranch_scc0 .LBB4_161
; %bb.160:                              ;   in Loop: Header=BB4_147 Depth=2
	flat_store_dwordx2 v[0:1], v[2:3]
	s_mov_b64 s[18:19], 0
.LBB4_161:                              ;   in Loop: Header=BB4_147 Depth=2
	s_andn2_b64 vcc, exec, s[18:19]
	s_cbranch_vccnz .LBB4_146
; %bb.162:                              ;   in Loop: Header=BB4_147 Depth=2
	global_store_dwordx2 v[0:1], v[2:3], off
	s_branch .LBB4_146
.LBB4_163:                              ;   in Loop: Header=BB4_23 Depth=1
	s_or_b64 exec, exec, s[38:39]
	v_accvgpr_read_b32 v33, a19
	v_accvgpr_read_b32 v45, a39
	v_mov_b32_e32 v22, v30
	v_accvgpr_read_b32 v32, a18
	v_accvgpr_read_b32 v44, a38
.LBB4_164:                              ;   in Loop: Header=BB4_23 Depth=1
	s_or_b64 exec, exec, s[20:21]
	s_and_saveexec_b64 s[18:19], s[10:11]
	s_cbranch_execnz .LBB4_166
; %bb.165:                              ;   in Loop: Header=BB4_23 Depth=1
	s_or_b64 exec, exec, s[18:19]
	s_and_saveexec_b64 s[18:19], s[14:15]
	s_cbranch_execz .LBB4_22
	s_branch .LBB4_184
.LBB4_166:                              ;   in Loop: Header=BB4_23 Depth=1
	s_and_saveexec_b64 s[20:21], s[30:31]
	s_xor_b64 s[20:21], exec, s[20:21]
	s_cbranch_execz .LBB4_181
; %bb.167:                              ;   in Loop: Header=BB4_23 Depth=1
	s_and_saveexec_b64 s[38:39], s[12:13]
	s_cbranch_execz .LBB4_180
; %bb.168:                              ;   in Loop: Header=BB4_23 Depth=1
	s_mov_b64 s[42:43], exec
	v_mbcnt_lo_u32_b32 v0, s42, 0
	v_mbcnt_hi_u32_b32 v0, s43, v0
	v_cmp_eq_u32_e32 vcc, 0, v0
	s_waitcnt vmcnt(0) lgkmcnt(0)
	buffer_wbinvl1_vol
	s_and_saveexec_b64 s[40:41], vcc
	s_cbranch_execz .LBB4_170
; %bb.169:                              ;   in Loop: Header=BB4_23 Depth=1
	s_bcnt1_i32_b64 vcc_lo, s[42:43]
	v_mov_b32_e32 v46, vcc_lo
	ds_add_u64 v0, v[46:47]
	s_trap 2
.LBB4_170:                              ;   in Loop: Header=BB4_23 Depth=1
	s_or_b64 exec, exec, s[40:41]
	s_trap 2
	ds_read_b64 v[0:1], v0
	v_accvgpr_read_b32 v2, a22
	v_add_co_u32_e32 v42, vcc, v42, v2
	v_accvgpr_read_b32 v3, a23
	v_addc_co_u32_e32 v43, vcc, v43, v3, vcc
	s_waitcnt lgkmcnt(0)
	v_cmp_lt_u64_e32 vcc, v[0:1], v[42:43]
	s_and_saveexec_b64 s[40:41], vcc
	s_cbranch_execz .LBB4_179
; %bb.171:                              ;   in Loop: Header=BB4_23 Depth=1
	s_mov_b32 s52, 0
	s_mov_b64 s[42:43], 0
                                        ; implicit-def: $sgpr44_sgpr45
                                        ; implicit-def: $sgpr46_sgpr47
	s_branch .LBB4_173
.LBB4_172:                              ;   in Loop: Header=BB4_173 Depth=2
	s_or_b64 exec, exec, s[50:51]
	s_and_b64 vcc, exec, vcc
	s_or_b64 s[42:43], vcc, s[42:43]
	s_andn2_b64 vcc, s[44:45], exec
	s_and_b64 s[44:45], s[46:47], exec
	s_or_b64 s[44:45], vcc, s[44:45]
	s_andn2_b64 exec, exec, s[42:43]
	s_cbranch_execz .LBB4_177
.LBB4_173:                              ;   Parent Loop BB4_23 Depth=1
                                        ; =>  This Inner Loop Header: Depth=2
	s_add_i32 s52, s52, 1
	s_cmpk_lg_i32 s52, 0x2710
	s_cselect_b64 s[48:49], -1, 0
	s_and_b64 vcc, exec, s[48:49]
                                        ; implicit-def: $sgpr50_sgpr51
	s_cbranch_vccnz .LBB4_175
; %bb.174:                              ;   in Loop: Header=BB4_173 Depth=2
	s_trap 2
	ds_read_b64 v[0:1], v0
	s_andn2_b64 s[48:49], s[48:49], exec
	s_mov_b32 s52, 0
	s_mov_b64 s[50:51], -1
	s_waitcnt lgkmcnt(0)
	flat_load_dword v0, v[0:1] glc
	s_waitcnt vmcnt(0) lgkmcnt(0)
	buffer_invl2
	buffer_wbinvl1_vol
	v_cmp_eq_u32_e32 vcc, 0, v0
	s_and_b64 vcc, vcc, exec
	s_or_b64 s[48:49], s[48:49], vcc
.LBB4_175:                              ;   in Loop: Header=BB4_173 Depth=2
	s_andn2_b64 s[46:47], s[46:47], exec
	s_and_b64 s[50:51], s[50:51], exec
	s_mov_b64 vcc, -1
	s_or_b64 s[46:47], s[46:47], s[50:51]
	s_and_saveexec_b64 s[50:51], s[48:49]
	s_cbranch_execz .LBB4_172
; %bb.176:                              ;   in Loop: Header=BB4_173 Depth=2
	s_sleep 1
	s_trap 2
	ds_read_b64 v[0:1], v0
	s_andn2_b64 s[46:47], s[46:47], exec
	s_waitcnt lgkmcnt(0)
	v_cmp_ge_u64_e32 vcc, v[0:1], v[42:43]
	s_orn2_b64 vcc, vcc, exec
	s_branch .LBB4_172
.LBB4_177:                              ;   in Loop: Header=BB4_23 Depth=1
	s_or_b64 exec, exec, s[42:43]
	s_and_saveexec_b64 vcc, s[44:45]
	s_xor_b64 vcc, exec, vcc
	s_cbranch_execz .LBB4_179
; %bb.178:                              ;   in Loop: Header=BB4_23 Depth=1
	v_mov_b32_e32 v0, 1
	ds_write_b32 v0, v0
	s_trap 2
.LBB4_179:                              ;   in Loop: Header=BB4_23 Depth=1
	s_or_b64 exec, exec, s[40:41]
	;;#ASMSTART
	s_wakeup
	;;#ASMEND
.LBB4_180:                              ;   in Loop: Header=BB4_23 Depth=1
	s_or_b64 exec, exec, s[38:39]
.LBB4_181:                              ;   in Loop: Header=BB4_23 Depth=1
	s_andn2_saveexec_b64 s[20:21], s[20:21]
	s_cbranch_execz .LBB4_183
; %bb.182:                              ;   in Loop: Header=BB4_23 Depth=1
	s_waitcnt vmcnt(0) lgkmcnt(0)
	buffer_wbinvl1_vol
	s_barrier
.LBB4_183:                              ;   in Loop: Header=BB4_23 Depth=1
	s_or_b64 exec, exec, s[20:21]
	s_or_b64 exec, exec, s[18:19]
	s_and_saveexec_b64 s[18:19], s[14:15]
	s_cbranch_execz .LBB4_22
.LBB4_184:                              ;   in Loop: Header=BB4_23 Depth=1
	v_add_co_u32_e32 v50, vcc, 1, v50
	v_accvgpr_read_b32 v0, a16
	v_addc_co_u32_e32 v51, vcc, 0, v51, vcc
	v_accvgpr_read_b32 v1, a17
	flat_store_dwordx2 v[0:1], v[50:51]
	s_branch .LBB4_22
.LBB4_185:
	s_or_b64 exec, exec, s[28:29]
	v_accvgpr_read_b32 v33, a11
	v_accvgpr_read_b32 v35, a13
	;; [unrolled: 1-line block ×4, first 2 shown]
.LBB4_186:
	s_or_b64 exec, exec, s[26:27]
; %bb.187:
	s_and_saveexec_b64 s[6:7], s[24:25]
	s_cbranch_execnz .LBB4_190
; %bb.188:
	s_or_b64 exec, exec, s[6:7]
	s_and_saveexec_b64 s[6:7], s[4:5]
	s_cbranch_execnz .LBB4_191
.LBB4_189:
	s_or_b64 exec, exec, s[6:7]
	v_cmp_ne_u32_e32 vcc, 64, v20
	s_and_saveexec_b64 s[4:5], vcc
	s_cbranch_execnz .LBB4_192
	s_branch .LBB4_209
.LBB4_190:
	s_waitcnt vmcnt(0) lgkmcnt(0)
	flat_store_dwordx2 v[34:35], v[50:51] offset:104
	s_or_b64 exec, exec, s[6:7]
	s_and_saveexec_b64 s[6:7], s[4:5]
	s_cbranch_execz .LBB4_189
.LBB4_191:
	s_waitcnt vmcnt(0) lgkmcnt(0)
	flat_store_dwordx2 v[32:33], v[14:15] offset:104
	s_or_b64 exec, exec, s[6:7]
	v_cmp_ne_u32_e32 vcc, 64, v20
	s_and_saveexec_b64 s[4:5], vcc
	s_cbranch_execz .LBB4_209
.LBB4_192:
	s_waitcnt vmcnt(0)
	v_cmp_ne_u32_sdwa s[6:7], v59, v20 src0_sel:WORD_0 src1_sel:DWORD
	s_and_saveexec_b64 s[8:9], s[6:7]
	s_xor_b64 s[6:7], exec, s[8:9]
	s_cbranch_execz .LBB4_207
; %bb.193:
	v_and_b32_e32 v0, 63, v31
	v_cmp_eq_u32_e32 vcc, 0, v0
	s_and_saveexec_b64 s[8:9], vcc
	s_cbranch_execz .LBB4_206
; %bb.194:
	s_mov_b64 s[12:13], exec
	v_mbcnt_lo_u32_b32 v0, s12, 0
	v_mbcnt_hi_u32_b32 v0, s13, v0
	v_cmp_eq_u32_e32 vcc, 0, v0
	s_waitcnt lgkmcnt(0)
	buffer_wbinvl1_vol
	s_and_saveexec_b64 s[10:11], vcc
	s_cbranch_execz .LBB4_196
; %bb.195:
	s_bcnt1_i32_b64 s12, s[12:13]
	v_mov_b32_e32 v0, s12
	v_mov_b32_e32 v1, 0
	ds_add_u64 v0, v[0:1]
	s_trap 2
.LBB4_196:
	s_or_b64 exec, exec, s[10:11]
	v_ashrrev_i32_e32 v0, 31, v20
	v_lshrrev_b32_e32 v0, 26, v0
	v_add_u32_e32 v0, v20, v0
	v_ashrrev_i32_e32 v0, 6, v0
	s_trap 2
	ds_read_b64 v[2:3], v0
	v_ashrrev_i32_e32 v1, 31, v0
	v_add_co_u32_e32 v0, vcc, v42, v0
	v_addc_co_u32_e32 v1, vcc, v43, v1, vcc
	s_waitcnt lgkmcnt(0)
	v_cmp_lt_u64_e32 vcc, v[2:3], v[0:1]
	s_and_saveexec_b64 s[10:11], vcc
	s_cbranch_execz .LBB4_205
; %bb.197:
	s_mov_b32 s24, 0
	s_mov_b64 s[12:13], 0
                                        ; implicit-def: $sgpr14_sgpr15
                                        ; implicit-def: $sgpr16_sgpr17
	s_branch .LBB4_199
.LBB4_198:                              ;   in Loop: Header=BB4_199 Depth=1
	s_or_b64 exec, exec, s[22:23]
	s_and_b64 s[18:19], exec, s[20:21]
	s_or_b64 s[12:13], s[18:19], s[12:13]
	s_andn2_b64 s[14:15], s[14:15], exec
	s_and_b64 s[18:19], s[16:17], exec
	s_or_b64 s[14:15], s[14:15], s[18:19]
	s_andn2_b64 exec, exec, s[12:13]
	s_cbranch_execz .LBB4_203
.LBB4_199:                              ; =>This Inner Loop Header: Depth=1
	s_add_i32 s24, s24, 1
	s_cmpk_lg_i32 s24, 0x2710
	s_cselect_b64 s[18:19], -1, 0
	s_and_b64 vcc, exec, s[18:19]
                                        ; implicit-def: $sgpr22_sgpr23
	s_cbranch_vccnz .LBB4_201
; %bb.200:                              ;   in Loop: Header=BB4_199 Depth=1
	s_trap 2
	ds_read_b64 v[2:3], v0
	s_andn2_b64 s[18:19], s[18:19], exec
	s_mov_b32 s24, 0
	s_mov_b64 s[22:23], -1
	s_waitcnt lgkmcnt(0)
	flat_load_dword v2, v[2:3] glc
	s_waitcnt vmcnt(0) lgkmcnt(0)
	buffer_invl2
	buffer_wbinvl1_vol
	v_cmp_eq_u32_e32 vcc, 0, v2
	s_and_b64 s[20:21], vcc, exec
	s_or_b64 s[18:19], s[18:19], s[20:21]
.LBB4_201:                              ;   in Loop: Header=BB4_199 Depth=1
	s_andn2_b64 s[16:17], s[16:17], exec
	s_and_b64 s[22:23], s[22:23], exec
	s_mov_b64 s[20:21], -1
	s_or_b64 s[16:17], s[16:17], s[22:23]
	s_and_saveexec_b64 s[22:23], s[18:19]
	s_cbranch_execz .LBB4_198
; %bb.202:                              ;   in Loop: Header=BB4_199 Depth=1
	s_sleep 1
	s_trap 2
	ds_read_b64 v[2:3], v0
	s_andn2_b64 s[16:17], s[16:17], exec
	s_waitcnt lgkmcnt(0)
	v_cmp_ge_u64_e32 vcc, v[2:3], v[0:1]
	s_orn2_b64 s[20:21], vcc, exec
	s_branch .LBB4_198
.LBB4_203:
	s_or_b64 exec, exec, s[12:13]
	s_and_saveexec_b64 s[12:13], s[14:15]
	s_xor_b64 s[12:13], exec, s[12:13]
	s_cbranch_execz .LBB4_205
; %bb.204:
	v_mov_b32_e32 v0, 1
	ds_write_b32 v0, v0
	s_trap 2
.LBB4_205:
	s_or_b64 exec, exec, s[10:11]
	;;#ASMSTART
	s_wakeup
	;;#ASMEND
.LBB4_206:
	s_or_b64 exec, exec, s[8:9]
.LBB4_207:
	s_andn2_saveexec_b64 s[6:7], s[6:7]
	s_cbranch_execz .LBB4_209
; %bb.208:
	s_waitcnt lgkmcnt(0)
	buffer_wbinvl1_vol
	s_barrier
.LBB4_209:
	s_or_b64 exec, exec, s[4:5]
	buffer_load_dword a43, off, s[0:3], s32 ; 4-byte Folded Reload
	buffer_load_dword a42, off, s[0:3], s32 offset:4 ; 4-byte Folded Reload
	buffer_load_dword a40, off, s[0:3], s32 offset:8 ; 4-byte Folded Reload
	;; [unrolled: 1-line block ×23, first 2 shown]
	s_waitcnt lgkmcnt(0)
	buffer_load_dword v41, off, s[0:3], s32 offset:96 ; 4-byte Folded Reload
	buffer_load_dword v40, off, s[0:3], s32 offset:100 ; 4-byte Folded Reload
	v_readlane_b32 s30, v63, 22
	v_readlane_b32 s31, v63, 23
	;; [unrolled: 1-line block ×24, first 2 shown]
	s_or_saveexec_b64 s[4:5], -1
	buffer_load_dword v63, off, s[0:3], s32 offset:104 ; 4-byte Folded Reload
	s_mov_b64 exec, s[4:5]
	s_waitcnt vmcnt(0)
	s_setpc_b64 s[30:31]
.Lfunc_end4:
	.size	_ZN12_GLOBAL__N_17runRingIm14FuncSumPostDivImE7ProtoLLLi0ELi4ELi0EEEviiP15ncclDevWorkColl, .Lfunc_end4-_ZN12_GLOBAL__N_17runRingIm14FuncSumPostDivImE7ProtoLLLi0ELi4ELi0EEEviiP15ncclDevWorkColl
                                        ; -- End function
	.section	.AMDGPU.csdata,"",@progbits
; Function info:
; codeLenInByte = 11356
; NumSgprs: 60
; NumVgprs: 64
; NumAgprs: 44
; TotalNumVgprs: 108
; ScratchSize: 112
; MemoryBound: 0
	.text
	.p2align	2                               ; -- Begin function _Z54ncclDevFunc_ReduceScatter_RING_LL_SumPostDiv_u64_0_0_4v
	.type	_Z54ncclDevFunc_ReduceScatter_RING_LL_SumPostDiv_u64_0_0_4v,@function
_Z54ncclDevFunc_ReduceScatter_RING_LL_SumPostDiv_u64_0_0_4v: ; @_Z54ncclDevFunc_ReduceScatter_RING_LL_SumPostDiv_u64_0_0_4v
; %bb.0:
	s_waitcnt vmcnt(0) expcnt(0) lgkmcnt(0)
	s_mov_b32 s4, s33
	s_mov_b32 s33, s32
	s_or_saveexec_b64 s[6:7], -1
	buffer_store_dword v42, off, s[0:3], s33 offset:12 ; 4-byte Folded Spill
	s_mov_b64 exec, s[6:7]
	v_writelane_b32 v42, s4, 32
	s_addk_i32 s32, 0x800
	buffer_store_dword v40, off, s[0:3], s33 offset:8 ; 4-byte Folded Spill
	buffer_store_dword v41, off, s[0:3], s33 offset:4 ; 4-byte Folded Spill
	buffer_store_dword v63, off, s[0:3], s33 ; 4-byte Folded Spill
	v_writelane_b32 v42, s34, 0
	v_writelane_b32 v42, s35, 1
	;; [unrolled: 1-line block ×32, first 2 shown]
	s_trap 2
	ds_read_b32 v0, v0
	v_and_b32_e32 v40, 0x3ff, v31
	s_mov_b32 s58, s12
	s_mov_b64 s[56:57], s[8:9]
	s_waitcnt lgkmcnt(0)
	v_cmp_lt_i32_e32 vcc, v40, v0
	s_and_saveexec_b64 s[4:5], vcc
	s_cbranch_execz .LBB5_5
; %bb.1:
	s_load_dword s6, s[56:57], 0x0
	v_mov_b32_e32 v1, 0
	v_mov_b32_e32 v4, v40
                                        ; implicit-def: $vgpr2
	s_waitcnt lgkmcnt(0)
	s_cmp_lt_u32 s58, s6
	s_cselect_b32 s6, 12, 18
	s_add_u32 s6, s56, s6
	s_addc_u32 s7, s57, 0
	global_load_ushort v1, v1, s[6:7]
	s_trap 2
	ds_read_b32 v3, v0
	s_mov_b64 s[6:7], 0
	s_waitcnt vmcnt(0) lgkmcnt(0)
	v_mul_lo_u32 v3, v3, v1
	s_branch .LBB5_3
.LBB5_2:                                ;   in Loop: Header=BB5_3 Depth=1
	s_or_b64 exec, exec, s[8:9]
	v_add_u32_e32 v4, v4, v1
	v_cmp_ge_i32_e32 vcc, v4, v0
	s_or_b64 s[6:7], vcc, s[6:7]
	v_add_u32_e32 v2, v2, v3
	s_andn2_b64 exec, exec, s[6:7]
	s_cbranch_execz .LBB5_5
.LBB5_3:                                ; =>This Inner Loop Header: Depth=1
	ds_read_b32 v5, v2
	s_waitcnt lgkmcnt(0)
	v_and_b32_e32 v5, 0x1000000, v5
	v_cmp_ne_u32_e32 vcc, 0, v5
	s_and_saveexec_b64 s[8:9], vcc
	s_cbranch_execz .LBB5_2
; %bb.4:                                ;   in Loop: Header=BB5_3 Depth=1
	ds_read_b64 v[6:7], v2 offset:104
	s_waitcnt lgkmcnt(0)
	flat_load_dwordx2 v[6:7], v[6:7]
	s_waitcnt vmcnt(0) lgkmcnt(0)
	ds_write_b64 v2, v[6:7] offset:104
	s_branch .LBB5_2
.LBB5_5:
	s_or_b64 exec, exec, s[4:5]
	s_waitcnt lgkmcnt(0)
	s_barrier
	s_trap 2
	ds_read_b32 v0, v0
	s_waitcnt lgkmcnt(0)
	v_cmp_gt_i32_e32 vcc, 1, v0
	s_cbranch_vccnz .LBB5_13
; %bb.6:
	s_mov_b32 s59, 0
	s_mov_b64 s[60:61], src_shared_base
	v_mov_b32_e32 v41, 6
	s_branch .LBB5_8
.LBB5_7:                                ;   in Loop: Header=BB5_8 Depth=1
	s_or_b64 exec, exec, s[62:63]
	s_trap 2
	ds_read_b32 v0, v0
	s_add_i32 s59, s59, 1
	s_waitcnt lgkmcnt(0)
	v_cmp_lt_i32_e32 vcc, s59, v0
	s_cbranch_vccz .LBB5_13
.LBB5_8:                                ; =>This Inner Loop Header: Depth=1
	s_trap 2
	ds_read_b32 v0, v0
	s_cmp_eq_u32 s59, 0
	s_cbranch_scc1 .LBB5_11
; %bb.9:                                ;   in Loop: Header=BB5_8 Depth=1
	s_trap 2
	s_waitcnt lgkmcnt(0)
	ds_read_b32 v1, v0
	s_waitcnt lgkmcnt(0)
	v_xor_b32_e32 v1, v1, v0
	v_and_b32_e32 v1, 0xff0000, v1
	v_cmp_eq_u32_e32 vcc, 0, v1
	s_cbranch_vccnz .LBB5_11
; %bb.10:                               ;   in Loop: Header=BB5_8 Depth=1
	s_barrier
	ds_read_b32 v0, v0
.LBB5_11:                               ;   in Loop: Header=BB5_8 Depth=1
	s_waitcnt lgkmcnt(0)
	v_lshlrev_b32_sdwa v1, v41, v0 dst_sel:DWORD dst_unused:UNUSED_PAD src0_sel:DWORD src1_sel:BYTE_2
	v_cmp_lt_u32_e32 vcc, v40, v1
	s_and_saveexec_b64 s[62:63], vcc
	s_cbranch_execz .LBB5_7
; %bb.12:                               ;   in Loop: Header=BB5_8 Depth=1
	s_mov_b64 s[8:9], s[56:57]
	s_mov_b32 s12, s58
	v_mov_b32_e32 v0, v40
	v_mov_b32_e32 v3, s61
	s_getpc_b64 s[4:5]
	s_add_u32 s4, s4, _ZN12_GLOBAL__N_17runRingIm14FuncSumPostDivImE7ProtoLLLi0ELi4ELi0EEEviiP15ncclDevWorkColl@rel32@lo+4
	s_addc_u32 s5, s5, _ZN12_GLOBAL__N_17runRingIm14FuncSumPostDivImE7ProtoLLLi0ELi4ELi0EEEviiP15ncclDevWorkColl@rel32@hi+12
	s_swappc_b64 s[30:31], s[4:5]
	s_branch .LBB5_7
.LBB5_13:
	buffer_load_dword v63, off, s[0:3], s33 ; 4-byte Folded Reload
	buffer_load_dword v41, off, s[0:3], s33 offset:4 ; 4-byte Folded Reload
	buffer_load_dword v40, off, s[0:3], s33 offset:8 ; 4-byte Folded Reload
	v_readlane_b32 s30, v42, 30
	v_readlane_b32 s31, v42, 31
	;; [unrolled: 1-line block ×33, first 2 shown]
	s_or_saveexec_b64 s[6:7], -1
	buffer_load_dword v42, off, s[0:3], s33 offset:12 ; 4-byte Folded Reload
	s_mov_b64 exec, s[6:7]
	s_addk_i32 s32, 0xf800
	s_mov_b32 s33, s4
	s_waitcnt vmcnt(0)
	s_setpc_b64 s[30:31]
.Lfunc_end5:
	.size	_Z54ncclDevFunc_ReduceScatter_RING_LL_SumPostDiv_u64_0_0_4v, .Lfunc_end5-_Z54ncclDevFunc_ReduceScatter_RING_LL_SumPostDiv_u64_0_0_4v
                                        ; -- End function
	.section	.AMDGPU.csdata,"",@progbits
; Function info:
; codeLenInByte = 1080
; NumSgprs: 68
; NumVgprs: 64
; NumAgprs: 44
; TotalNumVgprs: 108
; ScratchSize: 144
; MemoryBound: 0
	.text
	.p2alignl 6, 3212836864
	.fill 256, 4, 3212836864
	.type	__hip_cuid_f44e4e893a7548da,@object ; @__hip_cuid_f44e4e893a7548da
	.section	.bss,"aw",@nobits
	.globl	__hip_cuid_f44e4e893a7548da
__hip_cuid_f44e4e893a7548da:
	.byte	0                               ; 0x0
	.size	__hip_cuid_f44e4e893a7548da, 1

	.ident	"AMD clang version 19.0.0git (https://github.com/RadeonOpenCompute/llvm-project roc-6.4.0 25133 c7fe45cf4b819c5991fe208aaa96edf142730f1d)"
	.section	".note.GNU-stack","",@progbits
	.addrsig
	.addrsig_sym _Z54ncclDevFunc_ReduceScatter_RING_LL_SumPostDiv_u64_0_0_1v
	.addrsig_sym _Z54ncclDevFunc_ReduceScatter_RING_LL_SumPostDiv_u64_0_0_2v
	.addrsig_sym _Z54ncclDevFunc_ReduceScatter_RING_LL_SumPostDiv_u64_0_0_4v
	.addrsig_sym ncclShmem
	.addrsig_sym __hip_cuid_f44e4e893a7548da
	.amdgpu_metadata
---
amdhsa.kernels:  []
amdhsa.target:   amdgcn-amd-amdhsa--gfx90a
amdhsa.version:
  - 1
  - 2
...

	.end_amdgpu_metadata
